;; amdgpu-corpus repo=ROCm/rocFFT kind=compiled arch=gfx1201 opt=O3
	.text
	.amdgcn_target "amdgcn-amd-amdhsa--gfx1201"
	.amdhsa_code_object_version 6
	.protected	bluestein_single_back_len680_dim1_sp_op_CI_CI ; -- Begin function bluestein_single_back_len680_dim1_sp_op_CI_CI
	.globl	bluestein_single_back_len680_dim1_sp_op_CI_CI
	.p2align	8
	.type	bluestein_single_back_len680_dim1_sp_op_CI_CI,@function
bluestein_single_back_len680_dim1_sp_op_CI_CI: ; @bluestein_single_back_len680_dim1_sp_op_CI_CI
; %bb.0:
	s_load_b128 s[4:7], s[0:1], 0x28
	v_mul_u32_u24_e32 v1, 0x3c4, v0
	s_mov_b32 s2, exec_lo
	s_delay_alu instid0(VALU_DEP_1) | instskip(NEXT) | instid1(VALU_DEP_1)
	v_lshrrev_b32_e32 v1, 16, v1
	v_mad_co_u64_u32 v[56:57], null, ttmp9, 3, v[1:2]
	v_mov_b32_e32 v57, 0
                                        ; kill: def $vgpr2 killed $sgpr0 killed $exec
	s_wait_kmcnt 0x0
	s_delay_alu instid0(VALU_DEP_1)
	v_cmpx_gt_u64_e64 s[4:5], v[56:57]
	s_cbranch_execz .LBB0_23
; %bb.1:
	v_mul_hi_u32 v2, 0xaaaaaaab, v56
	v_mul_lo_u16 v1, 0x44, v1
	s_clause 0x1
	s_load_b64 s[12:13], s[0:1], 0x0
	s_load_b64 s[14:15], s[0:1], 0x38
	s_delay_alu instid0(VALU_DEP_1) | instskip(NEXT) | instid1(VALU_DEP_3)
	v_sub_nc_u16 v0, v0, v1
	v_lshrrev_b32_e32 v2, 1, v2
	s_delay_alu instid0(VALU_DEP_2) | instskip(SKIP_1) | instid1(VALU_DEP_3)
	v_and_b32_e32 v92, 0xffff, v0
	v_cmp_gt_u16_e32 vcc_lo, 40, v0
	v_lshl_add_u32 v2, v2, 1, v2
	s_delay_alu instid0(VALU_DEP_3) | instskip(SKIP_1) | instid1(VALU_DEP_3)
	v_lshlrev_b32_e32 v90, 3, v92
	v_or_b32_e32 v91, 0x140, v92
	v_sub_nc_u32_e32 v1, v56, v2
	v_or_b32_e32 v89, 0x280, v92
	s_delay_alu instid0(VALU_DEP_2) | instskip(NEXT) | instid1(VALU_DEP_1)
	v_mul_u32_u24_e32 v46, 0x2a8, v1
	v_lshlrev_b32_e32 v93, 3, v46
	s_and_saveexec_b32 s3, vcc_lo
	s_cbranch_execz .LBB0_3
; %bb.2:
	s_load_b64 s[4:5], s[0:1], 0x18
	s_delay_alu instid0(VALU_DEP_1)
	v_lshl_add_u32 v45, v92, 3, v93
	s_wait_kmcnt 0x0
	s_load_b128 s[8:11], s[4:5], 0x0
	s_wait_kmcnt 0x0
	v_mad_co_u64_u32 v[0:1], null, s10, v56, 0
	v_mad_co_u64_u32 v[2:3], null, s8, v92, 0
	;; [unrolled: 1-line block ×3, first 2 shown]
	s_mul_u64 s[4:5], s[8:9], 0x140
	s_delay_alu instid0(VALU_DEP_2) | instskip(SKIP_1) | instid1(VALU_DEP_3)
	v_mad_co_u64_u32 v[6:7], null, s11, v56, v[1:2]
	v_mad_co_u64_u32 v[7:8], null, s8, v89, 0
	;; [unrolled: 1-line block ×3, first 2 shown]
	s_clause 0x1
	global_load_b64 v[10:11], v90, s[12:13]
	global_load_b64 v[12:13], v90, s[12:13] offset:2560
	v_dual_mov_b32 v1, v6 :: v_dual_mov_b32 v6, v8
	s_delay_alu instid0(VALU_DEP_1) | instskip(NEXT) | instid1(VALU_DEP_2)
	v_lshlrev_b64_e32 v[0:1], 3, v[0:1]
	v_mad_co_u64_u32 v[14:15], null, s9, v89, v[6:7]
	v_mov_b32_e32 v3, v9
	v_mad_co_u64_u32 v[8:9], null, s9, v91, v[5:6]
	s_delay_alu instid0(VALU_DEP_4) | instskip(NEXT) | instid1(VALU_DEP_1)
	v_add_co_u32 v18, s2, s6, v0
	v_add_co_ci_u32_e64 v19, s2, s7, v1, s2
	s_delay_alu instid0(VALU_DEP_3) | instskip(SKIP_1) | instid1(VALU_DEP_2)
	v_dual_mov_b32 v5, v8 :: v_dual_mov_b32 v8, v14
	v_lshlrev_b64_e32 v[2:3], 3, v[2:3]
	v_lshlrev_b64_e32 v[4:5], 3, v[4:5]
	s_delay_alu instid0(VALU_DEP_3) | instskip(NEXT) | instid1(VALU_DEP_3)
	v_lshlrev_b64_e32 v[6:7], 3, v[7:8]
	v_add_co_u32 v0, s2, v18, v2
	s_wait_alu 0xf1ff
	s_delay_alu instid0(VALU_DEP_4) | instskip(SKIP_1) | instid1(VALU_DEP_2)
	v_add_co_ci_u32_e64 v1, s2, v19, v3, s2
	s_wait_alu 0xfffe
	v_add_co_u32 v2, s2, v0, s4
	s_wait_alu 0xf1ff
	s_delay_alu instid0(VALU_DEP_2) | instskip(SKIP_4) | instid1(VALU_DEP_2)
	v_add_co_ci_u32_e64 v3, s2, s5, v1, s2
	global_load_b64 v[0:1], v[0:1], off
	v_add_co_u32 v14, s2, v2, s4
	s_wait_alu 0xf1ff
	v_add_co_ci_u32_e64 v15, s2, s5, v3, s2
	v_add_co_u32 v8, s2, v14, s4
	s_wait_alu 0xf1ff
	s_delay_alu instid0(VALU_DEP_2)
	v_add_co_ci_u32_e64 v9, s2, s5, v15, s2
	v_add_co_u32 v4, s2, v18, v4
	s_wait_alu 0xf1ff
	v_add_co_ci_u32_e64 v5, s2, v19, v5, s2
	v_add_co_u32 v16, s2, v8, s4
	s_wait_alu 0xf1ff
	v_add_co_ci_u32_e64 v17, s2, s5, v9, s2
	global_load_b64 v[4:5], v[4:5], off
	v_add_co_u32 v6, s2, v18, v6
	s_wait_alu 0xf1ff
	v_add_co_ci_u32_e64 v7, s2, v19, v7, s2
	v_add_co_u32 v18, s2, v16, s4
	s_wait_alu 0xf1ff
	v_add_co_ci_u32_e64 v19, s2, s5, v17, s2
	global_load_b64 v[24:25], v90, s[12:13] offset:5120
	s_clause 0x1
	global_load_b64 v[6:7], v[6:7], off
	global_load_b64 v[2:3], v[2:3], off
	s_clause 0x2
	global_load_b64 v[28:29], v90, s[12:13] offset:320
	global_load_b64 v[30:31], v90, s[12:13] offset:640
	;; [unrolled: 1-line block ×3, first 2 shown]
	s_clause 0x1
	global_load_b64 v[14:15], v[14:15], off
	global_load_b64 v[8:9], v[8:9], off
	s_clause 0x3
	global_load_b64 v[34:35], v90, s[12:13] offset:1280
	global_load_b64 v[36:37], v90, s[12:13] offset:1600
	;; [unrolled: 1-line block ×4, first 2 shown]
	global_load_b64 v[16:17], v[16:17], off
	v_add_co_u32 v20, s2, v18, s4
	s_wait_alu 0xf1ff
	v_add_co_ci_u32_e64 v21, s2, s5, v19, s2
	s_delay_alu instid0(VALU_DEP_2) | instskip(SKIP_1) | instid1(VALU_DEP_2)
	v_add_co_u32 v22, s2, v20, s4
	s_wait_alu 0xf1ff
	v_add_co_ci_u32_e64 v23, s2, s5, v21, s2
	s_delay_alu instid0(VALU_DEP_1) | instskip(NEXT) | instid1(VALU_DEP_1)
	v_mad_co_u64_u32 v[26:27], null, 0x280, s8, v[22:23]
	v_add_co_u32 v57, s2, v26, s4
	s_wait_loadcnt 0xe
	v_mul_f32_e32 v73, v1, v11
	v_mul_f32_e32 v74, v0, v11
	s_delay_alu instid0(VALU_DEP_2) | instskip(NEXT) | instid1(VALU_DEP_2)
	v_fmac_f32_e32 v73, v0, v10
	v_fma_f32 v74, v1, v10, -v74
	s_wait_loadcnt 0xd
	v_mul_f32_e32 v11, v5, v13
	s_wait_loadcnt 0x9
	v_mad_co_u64_u32 v[42:43], null, 0x280, s9, v[27:28]
	s_clause 0x2
	global_load_b64 v[43:44], v90, s[12:13] offset:2880
	global_load_b64 v[47:48], v90, s[12:13] offset:3200
	;; [unrolled: 1-line block ×3, first 2 shown]
	global_load_b64 v[18:19], v[18:19], off
	s_clause 0x1
	global_load_b64 v[51:52], v90, s[12:13] offset:3840
	global_load_b64 v[53:54], v90, s[12:13] offset:4160
	global_load_b64 v[20:21], v[20:21], off
	global_load_b64 v[22:23], v[22:23], off
	v_dual_mul_f32 v76, v4, v13 :: v_dual_mov_b32 v27, v42
	v_add_nc_u32_e32 v42, v93, v90
	v_mul_f32_e32 v0, v3, v29
	v_mul_f32_e32 v1, v2, v29
	s_wait_alu 0xf1ff
	v_add_co_ci_u32_e64 v58, s2, s5, v27, s2
	v_add_co_u32 v59, s2, v57, s4
	global_load_b64 v[26:27], v[26:27], off
	s_wait_alu 0xf1ff
	v_add_co_ci_u32_e64 v60, s2, s5, v58, s2
	v_add_co_u32 v61, s2, v59, s4
	global_load_b64 v[57:58], v[57:58], off
	;; [unrolled: 4-line block ×5, first 2 shown]
	s_wait_alu 0xf1ff
	v_add_co_ci_u32_e64 v68, s2, s5, v66, s2
	global_load_b64 v[65:66], v[65:66], off
	s_clause 0x1
	global_load_b64 v[69:70], v90, s[12:13] offset:4480
	global_load_b64 v[71:72], v90, s[12:13] offset:4800
	global_load_b64 v[67:68], v[67:68], off
	v_add_nc_u32_e32 v75, 0x1000, v42
	v_dual_fmac_f32 v0, v2, v28 :: v_dual_add_nc_u32 v55, 0x800, v42
	s_wait_loadcnt 0x17
	v_mul_f32_e32 v2, v15, v31
	v_mul_f32_e32 v13, v7, v25
	;; [unrolled: 1-line block ×3, first 2 shown]
	v_fmac_f32_e32 v11, v4, v12
	v_fma_f32 v12, v5, v12, -v76
	s_wait_loadcnt 0x16
	v_dual_mul_f32 v5, v14, v31 :: v_dual_mul_f32 v4, v9, v33
	v_fmac_f32_e32 v2, v14, v30
	v_dual_fmac_f32 v13, v6, v24 :: v_dual_mul_f32 v6, v8, v33
	s_wait_loadcnt 0x11
	v_mul_f32_e32 v14, v17, v35
	v_fmac_f32_e32 v4, v8, v32
	v_fma_f32 v1, v3, v28, -v1
	ds_store_b64 v45, v[73:74]
	v_fmac_f32_e32 v14, v16, v34
	v_fma_f32 v3, v15, v30, -v5
	v_fma_f32 v5, v9, v32, -v6
	s_wait_loadcnt 0xd
	v_dual_mul_f32 v6, v16, v35 :: v_dual_mul_f32 v9, v18, v37
	v_mul_f32_e32 v8, v19, v37
	s_delay_alu instid0(VALU_DEP_2)
	v_fma_f32 v15, v17, v34, -v6
	s_wait_loadcnt 0xa
	v_mul_f32_e32 v16, v21, v39
	v_mul_f32_e32 v6, v20, v39
	v_fma_f32 v9, v19, v36, -v9
	v_fmac_f32_e32 v8, v18, v36
	s_wait_loadcnt 0x9
	v_mul_f32_e32 v18, v23, v41
	v_mul_f32_e32 v10, v22, v41
	ds_store_2addr_b64 v42, v[0:1], v[2:3] offset0:40 offset1:80
	ds_store_2addr_b64 v42, v[4:5], v[14:15] offset0:120 offset1:160
	s_wait_loadcnt 0x8
	v_mul_f32_e32 v1, v26, v44
	v_mul_f32_e32 v0, v27, v44
	s_wait_loadcnt 0x7
	v_mul_f32_e32 v3, v57, v48
	v_fma_f32 v17, v21, v38, -v6
	v_mul_f32_e32 v2, v58, v48
	v_fmac_f32_e32 v0, v26, v43
	v_fma_f32 v1, v27, v43, -v1
	s_wait_loadcnt 0x6
	v_mul_f32_e32 v5, v59, v50
	v_mul_f32_e32 v4, v60, v50
	v_fmac_f32_e32 v2, v57, v47
	v_fma_f32 v3, v58, v47, -v3
	s_wait_loadcnt 0x5
	v_mul_f32_e32 v6, v61, v52
	v_fmac_f32_e32 v4, v59, v49
	v_fma_f32 v5, v60, v49, -v5
	s_wait_loadcnt 0x2
	v_mul_f32_e32 v15, v66, v70
	v_fmac_f32_e32 v16, v20, v38
	s_wait_loadcnt 0x0
	s_delay_alu instid0(VALU_DEP_2)
	v_dual_mul_f32 v14, v67, v72 :: v_dual_fmac_f32 v15, v65, v69
	ds_store_2addr_b64 v42, v[8:9], v[16:17] offset0:200 offset1:240
	v_mul_f32_e32 v17, v68, v72
	v_fmac_f32_e32 v18, v22, v40
	v_fma_f32 v19, v23, v40, -v10
	v_mul_f32_e32 v8, v62, v52
	s_delay_alu instid0(VALU_DEP_4)
	v_dual_mul_f32 v10, v64, v54 :: v_dual_fmac_f32 v17, v67, v71
	v_fma_f32 v9, v62, v51, -v6
	ds_store_2addr_b64 v55, v[18:19], v[11:12] offset0:24 offset1:64
	v_mul_f32_e32 v6, v63, v54
	v_mul_f32_e32 v12, v65, v70
	v_fmac_f32_e32 v8, v61, v51
	v_fmac_f32_e32 v10, v63, v53
	v_fma_f32 v18, v68, v71, -v14
	v_fma_f32 v11, v64, v53, -v6
	;; [unrolled: 1-line block ×4, first 2 shown]
	ds_store_2addr_b64 v55, v[0:1], v[2:3] offset0:104 offset1:144
	ds_store_2addr_b64 v55, v[4:5], v[8:9] offset0:184 offset1:224
	;; [unrolled: 1-line block ×4, first 2 shown]
.LBB0_3:
	s_or_b32 exec_lo, exec_lo, s3
	v_mov_b32_e32 v4, 0
	v_mov_b32_e32 v5, 0
	global_wb scope:SCOPE_SE
	s_wait_dscnt 0x0
	s_wait_kmcnt 0x0
	s_barrier_signal -1
	s_barrier_wait -1
	global_inv scope:SCOPE_SE
                                        ; implicit-def: $vgpr18
                                        ; implicit-def: $vgpr12
                                        ; implicit-def: $vgpr8
                                        ; implicit-def: $vgpr44
                                        ; implicit-def: $vgpr26
                                        ; implicit-def: $vgpr34
                                        ; implicit-def: $vgpr30
                                        ; implicit-def: $vgpr22
	s_and_saveexec_b32 s2, vcc_lo
	s_cbranch_execz .LBB0_5
; %bb.4:
	v_lshl_add_u32 v0, v46, 3, v90
	ds_load_2addr_b64 v[4:7], v0 offset1:40
	ds_load_2addr_b64 v[20:23], v0 offset0:80 offset1:120
	v_add_nc_u32_e32 v1, 0x400, v0
	v_add_nc_u32_e32 v2, 0x800, v0
	;; [unrolled: 1-line block ×4, first 2 shown]
	ds_load_2addr_b64 v[28:31], v0 offset0:160 offset1:200
	ds_load_2addr_b64 v[32:35], v1 offset0:112 offset1:152
	;; [unrolled: 1-line block ×6, first 2 shown]
	ds_load_b64 v[44:45], v0 offset:5120
.LBB0_5:
	s_wait_alu 0xfffe
	s_or_b32 exec_lo, exec_lo, s2
	s_wait_dscnt 0x0
	v_dual_sub_f32 v36, v7, v45 :: v_dual_sub_f32 v37, v6, v44
	v_dual_add_f32 v104, v44, v6 :: v_dual_add_f32 v105, v45, v7
	v_dual_add_f32 v80, v10, v20 :: v_dual_sub_f32 v41, v21, v11
	s_delay_alu instid0(VALU_DEP_3) | instskip(SKIP_2) | instid1(VALU_DEP_4)
	v_dual_mul_f32 v47, 0xbeb8f4ab, v36 :: v_dual_mul_f32 v48, 0xbeb8f4ab, v37
	v_sub_f32_e32 v40, v20, v10
	v_dual_add_f32 v88, v11, v21 :: v_dual_mul_f32 v53, 0xbf2c7751, v36
	v_mul_f32_e32 v49, 0xbf2c7751, v41
	s_delay_alu instid0(VALU_DEP_4) | instskip(NEXT) | instid1(VALU_DEP_4)
	v_fma_f32 v1, 0x3f6eb680, v105, -v48
	v_dual_mul_f32 v50, 0xbf2c7751, v40 :: v_dual_sub_f32 v43, v23, v9
	v_fmamk_f32 v0, v104, 0x3f6eb680, v47
	v_dual_add_f32 v82, v8, v22 :: v_dual_sub_f32 v149, v29, v15
	s_delay_alu instid0(VALU_DEP_4) | instskip(NEXT) | instid1(VALU_DEP_4)
	v_add_f32_e32 v1, v1, v5
	v_fma_f32 v3, 0x3f3d2fb0, v88, -v50
	v_sub_f32_e32 v42, v22, v8
	v_dual_add_f32 v0, v0, v4 :: v_dual_mul_f32 v51, 0xbf65296c, v43
	v_dual_fmamk_f32 v2, v80, 0x3f3d2fb0, v49 :: v_dual_add_f32 v85, v9, v23
	s_delay_alu instid0(VALU_DEP_3) | instskip(SKIP_2) | instid1(VALU_DEP_4)
	v_dual_add_f32 v1, v3, v1 :: v_dual_mul_f32 v52, 0xbf65296c, v42
	v_dual_sub_f32 v94, v28, v14 :: v_dual_sub_f32 v157, v30, v12
	v_dual_mul_f32 v54, 0xbf7ee86f, v149 :: v_dual_sub_f32 v161, v32, v18
	v_dual_add_f32 v0, v2, v0 :: v_dual_add_f32 v97, v15, v29
	s_delay_alu instid0(VALU_DEP_4) | instskip(NEXT) | instid1(VALU_DEP_4)
	v_fma_f32 v3, 0x3ee437d1, v85, -v52
	v_dual_add_f32 v96, v14, v28 :: v_dual_mul_f32 v55, 0xbf7ee86f, v94
	s_delay_alu instid0(VALU_DEP_4)
	v_dual_mul_f32 v66, 0xbf4c4adb, v161 :: v_dual_sub_f32 v171, v25, v27
	v_sub_f32_e32 v164, v35, v17
	v_dual_fmamk_f32 v2, v82, 0x3ee437d1, v51 :: v_dual_add_f32 v99, v13, v31
	v_add_f32_e32 v1, v3, v1
	v_fma_f32 v3, 0x3dbcf732, v97, -v55
	v_dual_mul_f32 v64, 0xbf763a35, v157 :: v_dual_sub_f32 v163, v34, v16
	v_mul_f32_e32 v69, 0xbe3c28d5, v171
	v_dual_sub_f32 v162, v33, v19 :: v_dual_mul_f32 v67, 0xbf06c442, v164
	v_sub_f32_e32 v158, v31, v13
	v_dual_add_f32 v98, v12, v30 :: v_dual_add_f32 v101, v19, v33
	v_add_f32_e32 v1, v3, v1
	v_fma_f32 v3, 0xbe8c1d8e, v99, -v64
	v_dual_mul_f32 v65, 0xbf4c4adb, v162 :: v_dual_add_f32 v0, v2, v0
	v_mul_f32_e32 v63, 0xbf763a35, v158
	s_delay_alu instid0(VALU_DEP_3) | instskip(SKIP_2) | instid1(VALU_DEP_3)
	v_dual_fmamk_f32 v2, v96, 0x3dbcf732, v54 :: v_dual_add_f32 v1, v3, v1
	v_fma_f32 v3, 0xbf1a4643, v101, -v66
	v_dual_add_f32 v100, v18, v32 :: v_dual_add_f32 v103, v17, v35
	v_add_f32_e32 v0, v2, v0
	s_delay_alu instid0(VALU_DEP_3) | instskip(SKIP_2) | instid1(VALU_DEP_3)
	v_dual_fmamk_f32 v2, v98, 0xbe8c1d8e, v63 :: v_dual_add_f32 v1, v3, v1
	v_mul_f32_e32 v68, 0xbf06c442, v163
	v_dual_mul_f32 v83, 0xbf2c7751, v37 :: v_dual_add_f32 v102, v16, v34
	v_dual_mul_f32 v75, 0xbf7ee86f, v41 :: v_dual_add_f32 v0, v2, v0
	v_dual_sub_f32 v168, v24, v26 :: v_dual_mul_f32 v87, 0xbf7ee86f, v40
	s_delay_alu instid0(VALU_DEP_4) | instskip(SKIP_4) | instid1(VALU_DEP_4)
	v_fma_f32 v3, 0xbf59a7d5, v103, -v68
	v_fmamk_f32 v38, v104, 0x3f3d2fb0, v53
	v_fma_f32 v39, 0x3f3d2fb0, v105, -v83
	v_fmamk_f32 v2, v100, 0xbf1a4643, v65
	v_dual_add_f32 v108, v26, v24 :: v_dual_mul_f32 v79, 0xbf4c4adb, v42
	v_dual_add_f32 v38, v38, v4 :: v_dual_mul_f32 v81, 0xbe3c28d5, v94
	v_fmamk_f32 v57, v80, 0x3dbcf732, v75
	s_delay_alu instid0(VALU_DEP_4) | instskip(SKIP_4) | instid1(VALU_DEP_4)
	v_dual_add_f32 v39, v39, v5 :: v_dual_add_f32 v0, v2, v0
	v_fmamk_f32 v2, v102, 0xbf59a7d5, v67
	v_fma_f32 v58, 0x3dbcf732, v88, -v87
	v_dual_add_f32 v1, v3, v1 :: v_dual_mul_f32 v76, 0xbf4c4adb, v43
	v_add_f32_e32 v114, v27, v25
	v_add_f32_e32 v0, v2, v0
	v_dual_add_f32 v2, v57, v38 :: v_dual_mul_f32 v95, 0x3f763a35, v161
	v_dual_add_f32 v38, v58, v39 :: v_dual_mul_f32 v71, 0x3f763a35, v162
	v_fmamk_f32 v39, v82, 0xbf1a4643, v76
	v_fma_f32 v57, 0xbf1a4643, v85, -v79
	v_mul_f32_e32 v86, 0x3f06c442, v157
	v_dual_mul_f32 v70, 0xbe3c28d5, v168 :: v_dual_mul_f32 v77, 0xbe3c28d5, v149
	s_delay_alu instid0(VALU_DEP_4) | instskip(NEXT) | instid1(VALU_DEP_4)
	v_add_f32_e32 v2, v39, v2
	v_add_f32_e32 v3, v57, v38
	v_fma_f32 v39, 0xbf7ba420, v97, -v81
	v_fma_f32 v59, 0xbe8c1d8e, v101, -v95
	v_fmamk_f32 v57, v108, 0xbf7ba420, v69
	v_mul_f32_e32 v73, 0x3f65296c, v163
	v_fma_f32 v58, 0xbf7ba420, v114, -v70
	v_add_f32_e32 v3, v39, v3
	v_fma_f32 v39, 0xbf59a7d5, v99, -v86
	v_fmamk_f32 v38, v96, 0xbf7ba420, v77
	v_dual_mul_f32 v109, 0xbf65296c, v36 :: v_dual_mul_f32 v116, 0xbf65296c, v37
	v_mul_f32_e32 v74, 0x3eb8f4ab, v171
	s_delay_alu instid0(VALU_DEP_4) | instskip(NEXT) | instid1(VALU_DEP_4)
	v_dual_add_f32 v3, v39, v3 :: v_dual_mul_f32 v78, 0x3f06c442, v158
	v_dual_fmamk_f32 v39, v100, 0xbe8c1d8e, v71 :: v_dual_add_f32 v2, v38, v2
	v_mul_f32_e32 v117, 0xbf4c4adb, v40
	v_mul_f32_e32 v84, 0x3eb8f4ab, v168
	s_delay_alu instid0(VALU_DEP_4) | instskip(SKIP_3) | instid1(VALU_DEP_4)
	v_fmamk_f32 v38, v98, 0xbf59a7d5, v78
	v_mul_f32_e32 v112, 0xbf4c4adb, v41
	v_mul_f32_e32 v115, 0xbf06c442, v171
	v_dual_mul_f32 v113, 0x3e3c28d5, v43 :: v_dual_mul_f32 v118, 0x3e3c28d5, v42
	v_add_f32_e32 v38, v38, v2
	v_add_f32_e32 v2, v57, v0
	v_fma_f32 v57, 0x3ee437d1, v103, -v73
	v_fmamk_f32 v61, v108, 0xbf59a7d5, v115
	s_delay_alu instid0(VALU_DEP_4)
	v_dual_mul_f32 v111, 0x3f763a35, v149 :: v_dual_add_f32 v0, v39, v38
	v_add_f32_e32 v39, v59, v3
	v_add_f32_e32 v3, v58, v1
	v_fma_f32 v59, 0xbf1a4643, v88, -v117
	v_fmamk_f32 v58, v80, 0xbf1a4643, v112
	v_dual_mul_f32 v119, 0x3f763a35, v94 :: v_dual_mul_f32 v124, 0x3f763a35, v43
	v_add_f32_e32 v1, v57, v39
	v_fma_f32 v39, 0x3ee437d1, v105, -v116
	v_fmamk_f32 v57, v108, 0x3f6eb680, v74
	v_mul_f32_e32 v121, 0x3f2c7751, v157
	v_dual_mul_f32 v107, 0xbeb8f4ab, v162 :: v_dual_mul_f32 v120, 0xbeb8f4ab, v161
	s_delay_alu instid0(VALU_DEP_4) | instskip(SKIP_3) | instid1(VALU_DEP_4)
	v_dual_add_f32 v39, v39, v5 :: v_dual_mul_f32 v72, 0x3f65296c, v164
	v_mul_f32_e32 v122, 0xbf7ee86f, v163
	v_mul_f32_e32 v127, 0xbe3c28d5, v41
	;; [unrolled: 1-line block ×3, first 2 shown]
	v_add_f32_e32 v39, v59, v39
	v_fma_f32 v59, 0x3f6eb680, v114, -v84
	v_fmamk_f32 v38, v102, 0x3ee437d1, v72
	v_mul_f32_e32 v126, 0xbf7ee86f, v36
	v_fmamk_f32 v139, v82, 0x3f3d2fb0, v145
	s_delay_alu instid0(VALU_DEP_4) | instskip(NEXT) | instid1(VALU_DEP_4)
	v_dual_fmamk_f32 v60, v82, 0xbe8c1d8e, v124 :: v_dual_add_f32 v1, v59, v1
	v_add_f32_e32 v0, v38, v0
	v_fmamk_f32 v38, v104, 0x3ee437d1, v109
	v_mul_f32_e32 v110, 0xbf7ee86f, v164
	v_mul_f32_e32 v136, 0xbf7ee86f, v37
	;; [unrolled: 1-line block ×3, first 2 shown]
	v_dual_add_f32 v0, v57, v0 :: v_dual_fmamk_f32 v57, v82, 0xbf7ba420, v113
	v_add_f32_e32 v38, v38, v4
	v_dual_mul_f32 v130, 0xbf06c442, v162 :: v_dual_mul_f32 v123, 0xbf06c442, v168
	v_dual_mul_f32 v128, 0xbf65296c, v158 :: v_dual_mul_f32 v143, 0xbf65296c, v149
	s_delay_alu instid0(VALU_DEP_3) | instskip(SKIP_3) | instid1(VALU_DEP_3)
	v_add_f32_e32 v38, v58, v38
	v_fma_f32 v58, 0xbf7ba420, v85, -v118
	v_dual_mul_f32 v140, 0x3f7ee86f, v162 :: v_dual_mul_f32 v175, 0x3f7ee86f, v157
	v_mul_f32_e32 v132, 0xbf65296c, v157
	v_dual_add_f32 v38, v57, v38 :: v_dual_add_f32 v39, v58, v39
	v_fma_f32 v58, 0xbe8c1d8e, v97, -v119
	v_fmamk_f32 v57, v96, 0xbe8c1d8e, v111
	v_fmamk_f32 v148, v100, 0x3dbcf732, v140
	v_mul_f32_e32 v134, 0x3f4c4adb, v163
	s_delay_alu instid0(VALU_DEP_4) | instskip(SKIP_4) | instid1(VALU_DEP_4)
	v_dual_mul_f32 v146, 0xbf763a35, v36 :: v_dual_add_f32 v39, v58, v39
	v_fma_f32 v58, 0x3f3d2fb0, v99, -v121
	v_dual_mul_f32 v144, 0x3f06c442, v41 :: v_dual_mul_f32 v155, 0x3f06c442, v40
	v_mul_f32_e32 v154, 0xbf763a35, v37
	v_mul_f32_e32 v173, 0xbe3c28d5, v163
	v_add_f32_e32 v39, v58, v39
	v_fma_f32 v58, 0x3f6eb680, v101, -v120
	v_mul_f32_e32 v196, 0xbf06c442, v37
	v_dual_mul_f32 v142, 0xbe3c28d5, v158 :: v_dual_mul_f32 v151, 0xbe3c28d5, v157
	v_fma_f32 v182, 0xbf7ba420, v103, -v173
	s_delay_alu instid0(VALU_DEP_4) | instskip(SKIP_4) | instid1(VALU_DEP_4)
	v_add_f32_e32 v39, v58, v39
	v_fma_f32 v58, 0x3dbcf732, v103, -v122
	v_fma_f32 v183, 0xbf59a7d5, v105, -v196
	v_mul_f32_e32 v133, 0xbf06c442, v161
	v_mul_f32_e32 v194, 0xbf7ee86f, v42
	v_dual_mul_f32 v152, 0xbf65296c, v94 :: v_dual_add_f32 v39, v58, v39
	v_fmamk_f32 v58, v80, 0xbf7ba420, v127
	v_mul_f32_e32 v106, 0x3f2c7751, v158
	v_add_f32_e32 v38, v57, v38
	v_fma_f32 v191, 0x3dbcf732, v85, -v194
	v_mul_f32_e32 v193, 0x3f4c4adb, v94
	v_mul_f32_e32 v192, 0xbeb8f4ab, v157
	v_fmamk_f32 v57, v98, 0x3f3d2fb0, v106
	v_mul_f32_e32 v131, 0x3f2c7751, v171
	v_mul_f32_e32 v170, 0xbf4c4adb, v36
	;; [unrolled: 1-line block ×3, first 2 shown]
	v_fma_f32 v199, 0x3f6eb680, v99, -v192
	v_dual_add_f32 v38, v57, v38 :: v_dual_fmamk_f32 v57, v100, 0x3f6eb680, v107
	v_mul_f32_e32 v166, 0x3f7ee86f, v158
	v_mul_f32_e32 v188, 0xbf7ee86f, v43
	s_load_b64 s[2:3], s[0:1], 0x20
	global_wb scope:SCOPE_SE
	v_dual_add_f32 v38, v57, v38 :: v_dual_fmamk_f32 v57, v102, 0x3dbcf732, v110
	v_fmamk_f32 v59, v104, 0x3dbcf732, v126
	s_wait_kmcnt 0x0
	s_barrier_signal -1
	s_barrier_wait -1
	global_inv scope:SCOPE_SE
	v_dual_add_f32 v38, v57, v38 :: v_dual_add_f32 v57, v59, v4
	v_fma_f32 v59, 0x3dbcf732, v105, -v136
	v_mul_f32_e32 v137, 0xbe3c28d5, v40
	v_add_f32_e32 v183, v183, v5
	v_mul_f32_e32 v195, 0x3f65296c, v40
	v_add_f32_e32 v57, v58, v57
	v_add_f32_e32 v58, v59, v5
	v_fma_f32 v59, 0xbf7ba420, v88, -v137
	v_mul_f32_e32 v179, 0x3f763a35, v40
	v_fma_f32 v190, 0x3ee437d1, v88, -v195
	v_mul_f32_e32 v40, 0x3eb8f4ab, v40
	s_delay_alu instid0(VALU_DEP_4)
	v_dual_mul_f32 v169, 0xbeb8f4ab, v43 :: v_dual_add_f32 v58, v59, v58
	v_add_f32_e32 v59, v60, v57
	v_mul_f32_e32 v125, 0x3eb8f4ab, v149
	v_fma_f32 v60, 0xbe8c1d8e, v85, -v138
	v_add_f32_e32 v57, v61, v38
	v_fma_f32 v61, 0xbf59a7d5, v114, -v123
	v_mul_f32_e32 v135, 0x3eb8f4ab, v94
	v_fmamk_f32 v62, v96, 0x3f6eb680, v125
	v_add_f32_e32 v38, v60, v58
	v_fmamk_f32 v60, v98, 0x3ee437d1, v128
	v_dual_add_f32 v190, v190, v183 :: v_dual_mul_f32 v187, 0x3f4c4adb, v149
	s_delay_alu instid0(VALU_DEP_4) | instskip(SKIP_2) | instid1(VALU_DEP_4)
	v_add_f32_e32 v58, v62, v59
	v_fma_f32 v59, 0x3f6eb680, v97, -v135
	v_fma_f32 v159, 0xbe8c1d8e, v88, -v179
	v_add_f32_e32 v190, v191, v190
	v_fma_f32 v191, 0xbf1a4643, v97, -v193
	v_add_f32_e32 v58, v60, v58
	v_add_f32_e32 v38, v59, v38
	v_fma_f32 v59, 0x3ee437d1, v99, -v132
	v_fmamk_f32 v60, v100, 0xbf59a7d5, v130
	v_dual_mul_f32 v129, 0x3f4c4adb, v164 :: v_dual_add_f32 v190, v191, v190
	s_delay_alu instid0(VALU_DEP_3) | instskip(NEXT) | instid1(VALU_DEP_3)
	v_dual_mul_f32 v191, 0xbe3c28d5, v161 :: v_dual_add_f32 v38, v59, v38
	v_add_f32_e32 v59, v60, v58
	v_fma_f32 v60, 0xbf59a7d5, v101, -v133
	v_add_f32_e32 v58, v61, v39
	v_fma_f32 v39, 0xbf1a4643, v103, -v134
	v_fmamk_f32 v62, v102, 0xbf1a4643, v129
	v_fma_f32 v61, 0xbe8c1d8e, v105, -v154
	v_add_f32_e32 v38, v60, v38
	v_fmamk_f32 v60, v104, 0xbe8c1d8e, v146
	v_dual_mul_f32 v150, 0x3f7ee86f, v161 :: v_dual_add_f32 v199, v199, v190
	s_delay_alu instid0(VALU_DEP_3) | instskip(NEXT) | instid1(VALU_DEP_3)
	v_dual_add_f32 v59, v62, v59 :: v_dual_add_f32 v38, v39, v38
	v_add_f32_e32 v39, v60, v4
	v_fmamk_f32 v60, v80, 0xbf59a7d5, v144
	v_fmamk_f32 v62, v108, 0x3f3d2fb0, v131
	v_fma_f32 v201, 0xbf7ba420, v101, -v191
	v_mul_f32_e32 v180, 0xbf4c4adb, v37
	v_mul_f32_e32 v167, 0xbf06c442, v149
	v_dual_add_f32 v39, v60, v39 :: v_dual_add_f32 v60, v61, v5
	s_delay_alu instid0(VALU_DEP_4) | instskip(SKIP_3) | instid1(VALU_DEP_3)
	v_add_f32_e32 v199, v201, v199
	v_fma_f32 v61, 0xbf59a7d5, v88, -v155
	v_dual_add_f32 v59, v62, v59 :: v_dual_fmamk_f32 v62, v96, 0x3ee437d1, v143
	v_mul_f32_e32 v178, 0xbeb8f4ab, v42
	v_dual_mul_f32 v177, 0xbf06c442, v94 :: v_dual_add_f32 v60, v61, v60
	v_add_f32_e32 v39, v139, v39
	v_mul_f32_e32 v153, 0x3f2c7751, v42
	v_mul_f32_e32 v139, 0x3f2c7751, v168
	s_delay_alu instid0(VALU_DEP_4) | instskip(NEXT) | instid1(VALU_DEP_4)
	v_fma_f32 v165, 0xbf59a7d5, v97, -v177
	v_dual_fmamk_f32 v202, v88, 0x3f6eb680, v40 :: v_dual_add_f32 v39, v62, v39
	v_fmamk_f32 v62, v98, 0xbf7ba420, v142
	v_fma_f32 v61, 0x3f3d2fb0, v85, -v153
	v_fma_f32 v147, 0x3f3d2fb0, v114, -v139
	v_mul_f32_e32 v141, 0xbeb8f4ab, v164
	s_delay_alu instid0(VALU_DEP_4) | instskip(NEXT) | instid1(VALU_DEP_4)
	v_dual_mul_f32 v174, 0xbf2c7751, v161 :: v_dual_add_f32 v39, v62, v39
	v_add_f32_e32 v60, v61, v60
	v_fma_f32 v61, 0x3ee437d1, v97, -v152
	v_fma_f32 v62, 0xbf7ba420, v99, -v151
	s_delay_alu instid0(VALU_DEP_4) | instskip(SKIP_4) | instid1(VALU_DEP_3)
	v_fma_f32 v176, 0x3f3d2fb0, v101, -v174
	v_add_f32_e32 v39, v148, v39
	v_fma_f32 v148, 0xbf1a4643, v105, -v180
	v_dual_add_f32 v61, v61, v60 :: v_dual_add_f32 v60, v147, v38
	v_mul_f32_e32 v147, 0xbeb8f4ab, v163
	v_dual_mul_f32 v183, 0xbe3c28d5, v162 :: v_dual_add_f32 v156, v148, v5
	s_delay_alu instid0(VALU_DEP_3) | instskip(SKIP_4) | instid1(VALU_DEP_3)
	v_add_f32_e32 v38, v62, v61
	v_fma_f32 v61, 0x3dbcf732, v101, -v150
	v_fmamk_f32 v62, v102, 0x3f6eb680, v141
	v_dual_mul_f32 v148, 0xbf4c4adb, v171 :: v_dual_mul_f32 v157, 0xbf4c4adb, v157
	v_mul_f32_e32 v186, 0x3f65296c, v41
	v_dual_add_f32 v38, v61, v38 :: v_dual_add_f32 v39, v62, v39
	v_fma_f32 v61, 0x3f6eb680, v103, -v147
	v_fmamk_f32 v62, v104, 0xbf1a4643, v170
	v_fmamk_f32 v160, v108, 0xbf1a4643, v148
	v_fma_f32 v40, 0x3f6eb680, v88, -v40
	v_mul_f32_e32 v184, 0xbeb8f4ab, v158
	s_delay_alu instid0(VALU_DEP_4) | instskip(SKIP_4) | instid1(VALU_DEP_4)
	v_dual_add_f32 v38, v61, v38 :: v_dual_add_f32 v61, v62, v4
	v_fmamk_f32 v62, v80, 0xbe8c1d8e, v172
	v_mul_f32_e32 v41, 0x3eb8f4ab, v41
	v_fmamk_f32 v198, v100, 0xbf7ba420, v183
	v_dual_mul_f32 v190, 0x3f2c7751, v163 :: v_dual_mul_f32 v149, 0x3f2c7751, v149
	v_dual_add_f32 v61, v62, v61 :: v_dual_add_f32 v62, v159, v156
	v_fmamk_f32 v156, v82, 0x3f6eb680, v169
	v_fma_f32 v159, 0x3f6eb680, v85, -v178
	v_mul_f32_e32 v43, 0xbf06c442, v43
	v_mul_f32_e32 v158, 0xbf4c4adb, v158
	;; [unrolled: 1-line block ×3, first 2 shown]
	v_add_f32_e32 v156, v156, v61
	v_dual_add_f32 v62, v159, v62 :: v_dual_fmamk_f32 v159, v96, 0xbf59a7d5, v167
	v_add_f32_e32 v61, v160, v39
	v_fma_f32 v160, 0x3dbcf732, v99, -v175
	v_mul_f32_e32 v94, 0x3f2c7751, v94
	s_delay_alu instid0(VALU_DEP_4) | instskip(SKIP_4) | instid1(VALU_DEP_4)
	v_dual_add_f32 v62, v165, v62 :: v_dual_add_f32 v39, v159, v156
	v_fmamk_f32 v159, v98, 0x3dbcf732, v166
	v_mul_f32_e32 v165, 0xbf2c7751, v162
	v_mul_f32_e32 v156, 0xbf4c4adb, v168
	v_dual_mul_f32 v162, 0x3f65296c, v162 :: v_dual_mul_f32 v161, 0x3f65296c, v161
	v_add_f32_e32 v39, v159, v39
	s_delay_alu instid0(VALU_DEP_4)
	v_fmamk_f32 v159, v100, 0x3f3d2fb0, v165
	v_add_f32_e32 v62, v160, v62
	v_mul_f32_e32 v160, 0xbe3c28d5, v164
	v_fma_f32 v181, 0xbf1a4643, v114, -v156
	v_mul_f32_e32 v185, 0xbf06c442, v36
	v_add_f32_e32 v39, v159, v39
	s_delay_alu instid0(VALU_DEP_4) | instskip(NEXT) | instid1(VALU_DEP_3)
	v_dual_fmamk_f32 v159, v102, 0xbf7ba420, v160 :: v_dual_add_f32 v176, v176, v62
	v_dual_add_f32 v62, v181, v38 :: v_dual_fmamk_f32 v181, v104, 0xbf59a7d5, v185
	s_delay_alu instid0(VALU_DEP_2) | instskip(SKIP_1) | instid1(VALU_DEP_4)
	v_add_f32_e32 v38, v159, v39
	v_mul_f32_e32 v159, 0x3f65296c, v171
	v_add_f32_e32 v39, v182, v176
	s_delay_alu instid0(VALU_DEP_4) | instskip(NEXT) | instid1(VALU_DEP_1)
	v_dual_add_f32 v181, v181, v4 :: v_dual_fmamk_f32 v182, v80, 0x3ee437d1, v186
	v_dual_mul_f32 v176, 0x3f65296c, v168 :: v_dual_add_f32 v181, v182, v181
	v_fmamk_f32 v182, v82, 0x3dbcf732, v188
	s_delay_alu instid0(VALU_DEP_2) | instskip(NEXT) | instid1(VALU_DEP_2)
	v_fma_f32 v197, 0x3ee437d1, v114, -v176
	v_dual_add_f32 v181, v182, v181 :: v_dual_fmamk_f32 v182, v96, 0xbf1a4643, v187
	s_delay_alu instid0(VALU_DEP_2) | instskip(NEXT) | instid1(VALU_DEP_2)
	v_add_f32_e32 v39, v197, v39
	v_add_f32_e32 v181, v182, v181
	v_fmamk_f32 v182, v98, 0x3f6eb680, v184
	s_delay_alu instid0(VALU_DEP_1) | instskip(NEXT) | instid1(VALU_DEP_1)
	v_dual_add_f32 v181, v182, v181 :: v_dual_mul_f32 v182, 0x3f2c7751, v164
	v_dual_fmamk_f32 v189, v108, 0x3ee437d1, v159 :: v_dual_add_f32 v198, v198, v181
	s_delay_alu instid0(VALU_DEP_2) | instskip(NEXT) | instid1(VALU_DEP_2)
	v_fmamk_f32 v200, v102, 0x3f3d2fb0, v182
	v_dual_mul_f32 v181, 0xbf763a35, v171 :: v_dual_add_f32 v38, v189, v38
	s_delay_alu instid0(VALU_DEP_2) | instskip(SKIP_1) | instid1(VALU_DEP_3)
	v_add_f32_e32 v189, v200, v198
	v_fma_f32 v200, 0x3f3d2fb0, v103, -v190
	v_fmamk_f32 v198, v108, 0xbe8c1d8e, v181
	s_delay_alu instid0(VALU_DEP_2) | instskip(SKIP_1) | instid1(VALU_DEP_3)
	v_add_f32_e32 v197, v200, v199
	v_fma_f32 v200, 0x3f6eb680, v80, -v41
	v_dual_mul_f32 v201, 0xbe3c28d5, v36 :: v_dual_add_f32 v36, v198, v189
	s_delay_alu instid0(VALU_DEP_1) | instskip(NEXT) | instid1(VALU_DEP_1)
	v_fma_f32 v198, 0xbf7ba420, v104, -v201
	v_dual_mul_f32 v37, 0xbe3c28d5, v37 :: v_dual_add_f32 v198, v198, v4
	s_delay_alu instid0(VALU_DEP_1) | instskip(SKIP_2) | instid1(VALU_DEP_2)
	v_add_f32_e32 v198, v200, v198
	v_fma_f32 v200, 0xbf59a7d5, v82, -v43
	v_fmac_f32_e32 v43, 0xbf59a7d5, v82
	v_add_f32_e32 v198, v200, v198
	v_fma_f32 v200, 0x3f3d2fb0, v96, -v149
	v_mul_f32_e32 v189, 0xbf763a35, v168
	v_fmac_f32_e32 v41, 0x3f6eb680, v80
	s_delay_alu instid0(VALU_DEP_3) | instskip(SKIP_4) | instid1(VALU_DEP_4)
	v_dual_fmac_f32 v149, 0x3f3d2fb0, v96 :: v_dual_add_f32 v198, v200, v198
	v_fma_f32 v200, 0xbf1a4643, v98, -v158
	v_fmamk_f32 v199, v105, 0xbf7ba420, v37
	v_fma_f32 v37, 0xbf7ba420, v105, -v37
	v_fma_f32 v203, 0xbe8c1d8e, v114, -v189
	v_add_f32_e32 v198, v200, v198
	v_fma_f32 v200, 0x3ee437d1, v100, -v162
	s_delay_alu instid0(VALU_DEP_4) | instskip(SKIP_2) | instid1(VALU_DEP_4)
	v_add_f32_e32 v37, v37, v5
	v_fmac_f32_e32 v201, 0xbf7ba420, v104
	v_dual_add_f32 v199, v199, v5 :: v_dual_fmac_f32 v162, 0x3ee437d1, v100
	v_add_f32_e32 v198, v200, v198
	s_delay_alu instid0(VALU_DEP_4) | instskip(SKIP_3) | instid1(VALU_DEP_3)
	v_add_f32_e32 v37, v40, v37
	v_fma_f32 v40, 0xbf59a7d5, v85, -v42
	v_add_f32_e32 v201, v201, v4
	v_add_f32_e32 v199, v202, v199
	v_add_f32_e32 v37, v40, v37
	v_fma_f32 v40, 0x3f3d2fb0, v97, -v94
	s_delay_alu instid0(VALU_DEP_4) | instskip(NEXT) | instid1(VALU_DEP_2)
	v_add_f32_e32 v41, v41, v201
	v_dual_add_f32 v37, v40, v37 :: v_dual_fmamk_f32 v202, v85, 0xbf59a7d5, v42
	v_fma_f32 v40, 0xbf1a4643, v99, -v157
	s_delay_alu instid0(VALU_DEP_3) | instskip(NEXT) | instid1(VALU_DEP_3)
	v_dual_add_f32 v41, v43, v41 :: v_dual_mul_f32 v42, 0xbf763a35, v163
	v_add_f32_e32 v199, v202, v199
	s_delay_alu instid0(VALU_DEP_3) | instskip(SKIP_1) | instid1(VALU_DEP_4)
	v_add_f32_e32 v37, v40, v37
	v_fma_f32 v40, 0x3ee437d1, v101, -v161
	v_add_f32_e32 v41, v149, v41
	s_delay_alu instid0(VALU_DEP_2) | instskip(SKIP_2) | instid1(VALU_DEP_3)
	v_dual_add_f32 v37, v40, v37 :: v_dual_fmac_f32 v158, 0xbf1a4643, v98
	v_fma_f32 v40, 0xbe8c1d8e, v103, -v42
	v_mul_f32_e32 v149, 0x3f7ee86f, v171
	v_add_f32_e32 v41, v158, v41
	s_delay_alu instid0(VALU_DEP_1) | instskip(NEXT) | instid1(VALU_DEP_4)
	v_add_f32_e32 v41, v162, v41
	v_add_f32_e32 v162, v40, v37
	v_dual_mul_f32 v164, 0xbf763a35, v164 :: v_dual_add_f32 v37, v203, v197
	s_delay_alu instid0(VALU_DEP_1)
	v_fma_f32 v43, 0xbe8c1d8e, v102, -v164
	v_fmac_f32_e32 v164, 0xbe8c1d8e, v102
	v_fmamk_f32 v202, v97, 0x3f3d2fb0, v94
	v_fmamk_f32 v94, v103, 0xbe8c1d8e, v42
	v_fma_f32 v42, 0x3dbcf732, v108, -v149
	v_add_f32_e32 v43, v43, v198
	v_fmac_f32_e32 v149, 0x3dbcf732, v108
	v_dual_add_f32 v199, v202, v199 :: v_dual_fmamk_f32 v202, v99, 0xbf1a4643, v157
	s_delay_alu instid0(VALU_DEP_3) | instskip(NEXT) | instid1(VALU_DEP_2)
	v_dual_mul_f32 v157, 0x3f7ee86f, v168 :: v_dual_add_f32 v40, v42, v43
	v_dual_add_f32 v199, v202, v199 :: v_dual_fmamk_f32 v202, v101, 0x3ee437d1, v161
	s_delay_alu instid0(VALU_DEP_2) | instskip(SKIP_1) | instid1(VALU_DEP_2)
	v_dual_fmamk_f32 v158, v114, 0x3dbcf732, v157 :: v_dual_add_f32 v161, v164, v41
	v_fma_f32 v157, 0x3dbcf732, v114, -v157
	v_dual_add_f32 v199, v202, v199 :: v_dual_add_f32 v42, v149, v161
	s_delay_alu instid0(VALU_DEP_1) | instskip(NEXT) | instid1(VALU_DEP_1)
	v_dual_add_f32 v43, v157, v162 :: v_dual_add_f32 v94, v94, v199
	v_add_f32_e32 v41, v158, v94
	v_mul_lo_u16 v94, v92, 17
	s_and_saveexec_b32 s4, vcc_lo
	s_cbranch_execz .LBB0_7
; %bb.6:
	v_dual_mul_f32 v163, 0xbf59a7d5, v105 :: v_dual_mul_f32 v208, 0xbf59a7d5, v88
	v_mul_f32_e32 v162, 0x3ee437d1, v104
	v_mul_f32_e32 v171, 0x3dbcf732, v104
	v_dual_mul_f32 v149, 0x3f6eb680, v104 :: v_dual_mul_f32 v210, 0x3f6eb680, v99
	s_delay_alu instid0(VALU_DEP_4) | instskip(SKIP_3) | instid1(VALU_DEP_4)
	v_dual_add_f32 v163, v196, v163 :: v_dual_mul_f32 v196, 0x3ee437d1, v88
	v_mul_f32_e32 v168, 0x3ee437d1, v105
	v_mul_f32_e32 v200, 0xbf1a4643, v104
	v_dual_mul_f32 v158, 0x3f3d2fb0, v104 :: v_dual_mul_f32 v161, 0x3f3d2fb0, v105
	v_add_f32_e32 v163, v163, v5
	v_dual_add_f32 v195, v195, v196 :: v_dual_mul_f32 v196, 0x3dbcf732, v85
	v_mul_f32_e32 v157, 0x3f6eb680, v105
	v_dual_mul_f32 v198, 0xbe8c1d8e, v104 :: v_dual_mul_f32 v199, 0xbe8c1d8e, v105
	v_dual_mul_f32 v201, 0xbf59a7d5, v104 :: v_dual_add_f32 v192, v192, v210
	s_delay_alu instid0(VALU_DEP_4)
	v_dual_mul_f32 v104, 0x3f3d2fb0, v80 :: v_dual_add_f32 v163, v195, v163
	v_dual_mul_f32 v204, 0xbf1a4643, v80 :: v_dual_mul_f32 v195, 0xbf1a4643, v97
	v_add_f32_e32 v194, v194, v196
	v_mul_f32_e32 v206, 0xbf7ba420, v80
	v_mul_f32_e32 v209, 0x3ee437d1, v80
	v_sub_f32_e32 v185, v201, v185
	v_add_f32_e32 v193, v193, v195
	v_dual_add_f32 v163, v194, v163 :: v_dual_mul_f32 v196, 0xbf7ba420, v88
	v_mul_f32_e32 v194, 0xbe8c1d8e, v80
	v_dual_mul_f32 v197, 0x3dbcf732, v105 :: v_dual_mul_f32 v202, 0x3dbcf732, v80
	s_delay_alu instid0(VALU_DEP_3)
	v_dual_add_f32 v163, v193, v163 :: v_dual_mul_f32 v164, 0xbf1a4643, v105
	v_mul_f32_e32 v205, 0xbf1a4643, v88
	v_dual_mul_f32 v105, 0x3f3d2fb0, v88 :: v_dual_sub_f32 v186, v209, v186
	v_mul_f32_e32 v203, 0x3dbcf732, v88
	v_mul_f32_e32 v195, 0xbe8c1d8e, v88
	v_dual_mul_f32 v88, 0x3ee437d1, v85 :: v_dual_add_f32 v185, v185, v4
	v_dual_add_f32 v163, v192, v163 :: v_dual_mul_f32 v192, 0x3dbcf732, v82
	v_mul_f32_e32 v193, 0xbf7ba420, v101
	v_mul_f32_e32 v201, 0xbf1a4643, v82
	s_delay_alu instid0(VALU_DEP_4) | instskip(NEXT) | instid1(VALU_DEP_3)
	v_dual_add_f32 v185, v186, v185 :: v_dual_mul_f32 v186, 0x3f3d2fb0, v103
	v_dual_sub_f32 v188, v192, v188 :: v_dual_add_f32 v191, v191, v193
	v_mul_f32_e32 v207, 0xbf59a7d5, v80
	v_dual_mul_f32 v193, 0xbf1a4643, v85 :: v_dual_add_f32 v164, v180, v164
	v_mul_f32_e32 v192, 0xbf1a4643, v96
	v_add_f32_e32 v186, v190, v186
	v_dual_mul_f32 v190, 0xbf7ba420, v85 :: v_dual_add_f32 v163, v191, v163
	s_delay_alu instid0(VALU_DEP_3) | instskip(SKIP_1) | instid1(VALU_DEP_3)
	v_dual_mul_f32 v180, 0x3f3d2fb0, v85 :: v_dual_sub_f32 v187, v192, v187
	v_mul_f32_e32 v192, 0xbe8c1d8e, v85
	v_dual_add_f32 v164, v164, v5 :: v_dual_add_f32 v163, v186, v163
	v_dual_mul_f32 v186, 0x3f3d2fb0, v82 :: v_dual_add_f32 v185, v188, v185
	v_dual_mul_f32 v188, 0xbe8c1d8e, v82 :: v_dual_add_f32 v179, v179, v195
	v_dual_mul_f32 v85, 0x3f6eb680, v85 :: v_dual_sub_f32 v170, v200, v170
	s_delay_alu instid0(VALU_DEP_3) | instskip(NEXT) | instid1(VALU_DEP_2)
	v_dual_add_f32 v185, v187, v185 :: v_dual_sub_f32 v172, v194, v172
	v_dual_add_f32 v164, v179, v164 :: v_dual_add_f32 v85, v178, v85
	v_mul_f32_e32 v178, 0xbe8c1d8e, v114
	v_mul_f32_e32 v187, 0x3f6eb680, v98
	;; [unrolled: 1-line block ×5, first 2 shown]
	v_add_f32_e32 v178, v189, v178
	v_sub_f32_e32 v184, v187, v184
	v_mul_f32_e32 v187, 0xbf7ba420, v100
	v_mul_f32_e32 v189, 0xbe8c1d8e, v108
	v_dual_sub_f32 v179, v179, v182 :: v_dual_add_f32 v170, v170, v4
	s_delay_alu instid0(VALU_DEP_3) | instskip(SKIP_1) | instid1(VALU_DEP_3)
	v_dual_add_f32 v184, v184, v185 :: v_dual_sub_f32 v183, v187, v183
	v_mul_f32_e32 v187, 0xbf7ba420, v96
	v_dual_add_f32 v85, v85, v164 :: v_dual_add_f32 v170, v172, v170
	s_delay_alu instid0(VALU_DEP_3)
	v_dual_mul_f32 v164, 0xbf59a7d5, v97 :: v_dual_add_f32 v183, v183, v184
	v_dual_mul_f32 v194, 0xbf59a7d5, v98 :: v_dual_sub_f32 v181, v189, v181
	v_mul_f32_e32 v80, 0x3ee437d1, v82
	v_mul_f32_e32 v82, 0x3f6eb680, v82
	;; [unrolled: 1-line block ×5, first 2 shown]
	v_dual_add_f32 v177, v177, v164 :: v_dual_mul_f32 v172, 0xbf7ba420, v103
	v_add_f32_e32 v164, v178, v163
	v_mul_f32_e32 v178, 0x3ee437d1, v96
	v_dual_mul_f32 v96, 0xbf59a7d5, v96 :: v_dual_add_f32 v179, v179, v183
	v_sub_f32_e32 v82, v82, v169
	v_mul_f32_e32 v209, 0x3f6eb680, v97
	s_delay_alu instid0(VALU_DEP_3) | instskip(NEXT) | instid1(VALU_DEP_4)
	v_dual_add_f32 v85, v177, v85 :: v_dual_sub_f32 v96, v96, v167
	v_add_f32_e32 v163, v181, v179
	s_delay_alu instid0(VALU_DEP_4) | instskip(SKIP_2) | instid1(VALU_DEP_3)
	v_dual_mul_f32 v179, 0x3dbcf732, v99 :: v_dual_add_f32 v82, v82, v170
	v_mul_f32_e32 v184, 0xbf7ba420, v97
	v_dual_mul_f32 v183, 0xbe8c1d8e, v97 :: v_dual_add_f32 v172, v173, v172
	v_add_f32_e32 v175, v175, v179
	v_mul_f32_e32 v179, 0x3f3d2fb0, v101
	v_dual_mul_f32 v97, 0x3ee437d1, v97 :: v_dual_add_f32 v82, v96, v82
	s_delay_alu instid0(VALU_DEP_3) | instskip(SKIP_1) | instid1(VALU_DEP_4)
	v_dual_mul_f32 v170, 0xbf7ba420, v98 :: v_dual_add_f32 v85, v175, v85
	v_add_f32_e32 v96, v154, v199
	v_dual_add_f32 v174, v174, v179 :: v_dual_mul_f32 v177, 0xbe8c1d8e, v98
	v_mul_f32_e32 v200, 0xbe8c1d8e, v100
	v_mul_f32_e32 v179, 0x3f3d2fb0, v98
	s_delay_alu instid0(VALU_DEP_4) | instskip(NEXT) | instid1(VALU_DEP_4)
	v_dual_mul_f32 v175, 0xbf59a7d5, v99 :: v_dual_add_f32 v96, v96, v5
	v_dual_add_f32 v85, v174, v85 :: v_dual_mul_f32 v174, 0x3ee437d1, v98
	v_dual_mul_f32 v98, 0x3dbcf732, v98 :: v_dual_add_f32 v155, v155, v208
	v_dual_mul_f32 v181, 0xbe8c1d8e, v99 :: v_dual_mul_f32 v154, 0xbe8c1d8e, v101
	v_dual_mul_f32 v167, 0x3ee437d1, v114 :: v_dual_sub_f32 v144, v207, v144
	s_delay_alu instid0(VALU_DEP_3) | instskip(SKIP_1) | instid1(VALU_DEP_3)
	v_dual_sub_f32 v98, v98, v166 :: v_dual_mul_f32 v169, 0x3f3d2fb0, v99
	v_dual_sub_f32 v146, v198, v146 :: v_dual_add_f32 v153, v153, v180
	v_dual_add_f32 v167, v176, v167 :: v_dual_mul_f32 v176, 0xbf1a4643, v101
	s_delay_alu instid0(VALU_DEP_3)
	v_add_f32_e32 v82, v98, v82
	v_mul_f32_e32 v98, 0x3f6eb680, v101
	v_dual_mul_f32 v173, 0x3ee437d1, v99 :: v_dual_add_f32 v96, v155, v96
	v_mul_f32_e32 v99, 0xbf7ba420, v99
	v_mul_f32_e32 v166, 0x3f3d2fb0, v100
	v_dual_mul_f32 v155, 0xbf59a7d5, v101 :: v_dual_mul_f32 v180, 0xbf59a7d5, v103
	v_dual_mul_f32 v101, 0x3dbcf732, v101 :: v_dual_add_f32 v146, v146, v4
	v_dual_add_f32 v97, v152, v97 :: v_dual_mul_f32 v152, 0x3dbcf732, v102
	v_dual_mul_f32 v207, 0x3ee437d1, v102 :: v_dual_add_f32 v96, v153, v96
	s_delay_alu instid0(VALU_DEP_3) | instskip(SKIP_2) | instid1(VALU_DEP_4)
	v_dual_mul_f32 v199, 0x3f6eb680, v100 :: v_dual_add_f32 v144, v144, v146
	v_dual_sub_f32 v165, v166, v165 :: v_dual_mul_f32 v198, 0xbf59a7d5, v102
	v_mul_f32_e32 v146, 0x3dbcf732, v103
	v_dual_mul_f32 v153, 0x3ee437d1, v103 :: v_dual_add_f32 v96, v97, v96
	v_dual_sub_f32 v145, v186, v145 :: v_dual_mul_f32 v186, 0xbf1a4643, v102
	v_add_f32_e32 v97, v151, v99
	v_mul_f32_e32 v99, 0x3f6eb680, v102
	v_mul_f32_e32 v102, 0xbf7ba420, v102
	s_delay_alu instid0(VALU_DEP_4)
	v_add_f32_e32 v144, v145, v144
	v_dual_mul_f32 v166, 0xbf59a7d5, v100 :: v_dual_add_f32 v85, v172, v85
	v_mul_f32_e32 v208, 0xbf1a4643, v103
	v_dual_mul_f32 v103, 0x3f6eb680, v103 :: v_dual_add_f32 v82, v165, v82
	v_dual_mul_f32 v151, 0xbf7ba420, v114 :: v_dual_sub_f32 v102, v102, v160
	v_mul_f32_e32 v172, 0xbf1a4643, v100
	v_dual_mul_f32 v100, 0x3dbcf732, v100 :: v_dual_sub_f32 v143, v178, v143
	v_dual_mul_f32 v160, 0x3f6eb680, v114 :: v_dual_mul_f32 v165, 0x3f6eb680, v108
	s_delay_alu instid0(VALU_DEP_4)
	v_add_f32_e32 v102, v102, v82
	v_add_f32_e32 v96, v97, v96
	v_dual_mul_f32 v178, 0xbf59a7d5, v108 :: v_dual_add_f32 v97, v150, v101
	v_add_f32_e32 v82, v167, v85
	v_add_f32_e32 v85, v136, v197
	v_dual_mul_f32 v145, 0xbf7ba420, v108 :: v_dual_sub_f32 v142, v170, v142
	v_mul_f32_e32 v101, 0xbf59a7d5, v114
	v_dual_add_f32 v143, v143, v144 :: v_dual_mul_f32 v150, 0x3f3d2fb0, v114
	v_mul_f32_e32 v144, 0x3f3d2fb0, v108
	v_dual_mul_f32 v114, 0xbf1a4643, v114 :: v_dual_add_f32 v85, v85, v5
	v_dual_add_f32 v96, v97, v96 :: v_dual_sub_f32 v99, v99, v141
	v_dual_add_f32 v97, v147, v103 :: v_dual_add_f32 v136, v137, v196
	v_dual_mul_f32 v170, 0xbf1a4643, v108 :: v_dual_add_f32 v103, v142, v143
	v_mul_f32_e32 v108, 0x3ee437d1, v108
	s_delay_alu instid0(VALU_DEP_3) | instskip(SKIP_4) | instid1(VALU_DEP_3)
	v_dual_add_f32 v96, v97, v96 :: v_dual_add_f32 v85, v136, v85
	v_sub_f32_e32 v100, v100, v140
	v_add_f32_e32 v97, v156, v114
	v_sub_f32_e32 v114, v171, v126
	v_dual_add_f32 v116, v116, v168 :: v_dual_add_f32 v117, v117, v205
	v_dual_add_f32 v100, v100, v103 :: v_dual_add_f32 v97, v97, v96
	v_add_f32_e32 v103, v138, v192
	v_dual_sub_f32 v109, v162, v109 :: v_dual_add_f32 v98, v120, v98
	s_delay_alu instid0(VALU_DEP_3) | instskip(SKIP_1) | instid1(VALU_DEP_4)
	v_add_f32_e32 v96, v99, v100
	v_add_f32_e32 v99, v135, v209
	v_dual_add_f32 v85, v103, v85 :: v_dual_sub_f32 v108, v108, v159
	v_sub_f32_e32 v103, v206, v127
	v_add_f32_e32 v100, v114, v4
	s_delay_alu instid0(VALU_DEP_3) | instskip(SKIP_1) | instid1(VALU_DEP_3)
	v_dual_sub_f32 v112, v204, v112 :: v_dual_add_f32 v85, v99, v85
	v_dual_add_f32 v99, v132, v173 :: v_dual_sub_f32 v114, v170, v148
	v_add_f32_e32 v100, v103, v100
	v_sub_f32_e32 v103, v188, v124
	v_add_f32_e32 v83, v83, v161
	s_delay_alu instid0(VALU_DEP_4) | instskip(SKIP_1) | instid1(VALU_DEP_4)
	v_add_f32_e32 v85, v99, v85
	v_dual_add_f32 v99, v133, v155 :: v_dual_add_f32 v116, v116, v5
	v_dual_add_f32 v100, v103, v100 :: v_dual_sub_f32 v103, v189, v125
	v_sub_f32_e32 v53, v158, v53
	s_delay_alu instid0(VALU_DEP_3)
	v_dual_add_f32 v85, v99, v85 :: v_dual_add_f32 v116, v117, v116
	v_add_f32_e32 v117, v118, v190
	v_add_f32_e32 v99, v134, v208
	;; [unrolled: 1-line block ×5, first 2 shown]
	v_sub_f32_e32 v103, v174, v128
	v_dual_add_f32 v116, v117, v116 :: v_dual_add_f32 v117, v119, v183
	v_add_f32_e32 v85, v99, v85
	v_add_f32_e32 v53, v53, v4
	s_delay_alu instid0(VALU_DEP_4) | instskip(NEXT) | instid1(VALU_DEP_4)
	v_dual_add_f32 v99, v103, v100 :: v_dual_sub_f32 v100, v166, v130
	v_dual_add_f32 v103, v117, v116 :: v_dual_add_f32 v116, v139, v150
	v_sub_f32_e32 v75, v202, v75
	s_delay_alu instid0(VALU_DEP_3) | instskip(SKIP_1) | instid1(VALU_DEP_4)
	v_dual_add_f32 v6, v6, v4 :: v_dual_add_f32 v99, v100, v99
	v_sub_f32_e32 v100, v186, v129
	v_add_f32_e32 v103, v114, v103
	v_add_f32_e32 v109, v109, v4
	;; [unrolled: 1-line block ×6, first 2 shown]
	v_dual_add_f32 v100, v122, v146 :: v_dual_add_f32 v103, v112, v109
	v_dual_sub_f32 v109, v191, v113 :: v_dual_sub_f32 v112, v144, v131
	s_delay_alu instid0(VALU_DEP_2) | instskip(NEXT) | instid1(VALU_DEP_2)
	v_dual_sub_f32 v75, v201, v76 :: v_dual_add_f32 v98, v100, v98
	v_dual_add_f32 v100, v123, v101 :: v_dual_add_f32 v101, v109, v103
	v_add_f32_e32 v109, v87, v203
	v_dual_add_f32 v7, v7, v5 :: v_dual_add_f32 v6, v20, v6
	s_delay_alu instid0(VALU_DEP_3) | instskip(SKIP_4) | instid1(VALU_DEP_4)
	v_add_f32_e32 v87, v100, v98
	v_dual_sub_f32 v100, v179, v106 :: v_dual_sub_f32 v103, v182, v111
	v_add_f32_e32 v53, v75, v53
	v_sub_f32_e32 v75, v187, v77
	v_dual_add_f32 v7, v21, v7 :: v_dual_add_f32 v6, v22, v6
	v_add_f32_e32 v98, v103, v101
	v_dual_add_f32 v79, v79, v193 :: v_dual_sub_f32 v20, v200, v71
	s_delay_alu instid0(VALU_DEP_3) | instskip(NEXT) | instid1(VALU_DEP_4)
	v_add_f32_e32 v7, v23, v7
	v_add_f32_e32 v23, v28, v6
	s_delay_alu instid0(VALU_DEP_4) | instskip(SKIP_4) | instid1(VALU_DEP_3)
	v_add_f32_e32 v98, v100, v98
	v_sub_f32_e32 v100, v199, v107
	v_dual_add_f32 v83, v83, v5 :: v_dual_sub_f32 v28, v149, v47
	v_add_f32_e32 v53, v75, v53
	v_sub_f32_e32 v75, v194, v78
	v_dual_add_f32 v76, v100, v98 :: v_dual_add_f32 v83, v109, v83
	v_sub_f32_e32 v77, v178, v115
	v_add_f32_e32 v71, v84, v160
	v_add_f32_e32 v81, v81, v184
	;; [unrolled: 1-line block ×4, first 2 shown]
	v_dual_sub_f32 v83, v152, v110 :: v_dual_sub_f32 v22, v207, v72
	v_add_f32_e32 v4, v28, v4
	s_delay_alu instid0(VALU_DEP_3) | instskip(SKIP_1) | instid1(VALU_DEP_2)
	v_dual_add_f32 v20, v20, v53 :: v_dual_add_f32 v79, v81, v79
	v_dual_add_f32 v81, v86, v175 :: v_dual_sub_f32 v28, v104, v49
	v_dual_add_f32 v73, v73, v153 :: v_dual_add_f32 v20, v22, v20
	v_add_f32_e32 v22, v30, v23
	s_delay_alu instid0(VALU_DEP_3) | instskip(NEXT) | instid1(VALU_DEP_4)
	v_add_f32_e32 v79, v81, v79
	v_dual_add_f32 v81, v95, v154 :: v_dual_add_f32 v4, v28, v4
	v_add_f32_e32 v84, v112, v99
	v_add_f32_e32 v76, v83, v76
	s_delay_alu instid0(VALU_DEP_3) | instskip(NEXT) | instid1(VALU_DEP_2)
	v_dual_add_f32 v78, v81, v79 :: v_dual_add_f32 v81, v108, v102
	v_add_f32_e32 v86, v77, v76
	s_delay_alu instid0(VALU_DEP_2) | instskip(NEXT) | instid1(VALU_DEP_1)
	v_add_f32_e32 v21, v73, v78
	v_add_f32_e32 v6, v71, v21
	;; [unrolled: 1-line block ×3, first 2 shown]
	s_delay_alu instid0(VALU_DEP_1) | instskip(SKIP_1) | instid1(VALU_DEP_1)
	v_add_f32_e32 v5, v21, v5
	v_dual_add_f32 v21, v32, v22 :: v_dual_add_f32 v22, v50, v105
	v_add_f32_e32 v21, v34, v21
	s_delay_alu instid0(VALU_DEP_1) | instskip(NEXT) | instid1(VALU_DEP_1)
	v_add_f32_e32 v21, v24, v21
	v_dual_sub_f32 v24, v80, v51 :: v_dual_add_f32 v21, v26, v21
	s_delay_alu instid0(VALU_DEP_1) | instskip(SKIP_1) | instid1(VALU_DEP_3)
	v_add_f32_e32 v4, v24, v4
	v_sub_f32_e32 v24, v195, v54
	v_dual_add_f32 v16, v16, v21 :: v_dual_sub_f32 v21, v177, v63
	s_delay_alu instid0(VALU_DEP_2) | instskip(NEXT) | instid1(VALU_DEP_2)
	v_add_f32_e32 v4, v24, v4
	v_add_f32_e32 v16, v18, v16
	s_delay_alu instid0(VALU_DEP_2) | instskip(NEXT) | instid1(VALU_DEP_2)
	v_add_f32_e32 v4, v21, v4
	v_dual_add_f32 v7, v29, v7 :: v_dual_add_f32 v12, v12, v16
	s_delay_alu instid0(VALU_DEP_1) | instskip(NEXT) | instid1(VALU_DEP_2)
	v_dual_add_f32 v16, v68, v180 :: v_dual_add_f32 v7, v31, v7
	v_add_f32_e32 v12, v14, v12
	v_dual_add_f32 v5, v22, v5 :: v_dual_and_b32 v14, 0xffff, v94
	s_delay_alu instid0(VALU_DEP_3) | instskip(NEXT) | instid1(VALU_DEP_3)
	v_dual_add_f32 v7, v33, v7 :: v_dual_add_f32 v22, v52, v88
	v_dual_sub_f32 v23, v165, v74 :: v_dual_add_f32 v8, v8, v12
	s_delay_alu instid0(VALU_DEP_2) | instskip(NEXT) | instid1(VALU_DEP_3)
	v_dual_sub_f32 v12, v145, v69 :: v_dual_add_f32 v7, v35, v7
	v_add_f32_e32 v5, v22, v5
	s_delay_alu instid0(VALU_DEP_2) | instskip(NEXT) | instid1(VALU_DEP_1)
	v_dual_add_f32 v22, v55, v185 :: v_dual_add_f32 v7, v25, v7
	v_add_f32_e32 v5, v22, v5
	s_delay_alu instid0(VALU_DEP_2) | instskip(NEXT) | instid1(VALU_DEP_1)
	v_add_f32_e32 v7, v27, v7
	v_add_f32_e32 v7, v17, v7
	;; [unrolled: 1-line block ×3, first 2 shown]
	s_delay_alu instid0(VALU_DEP_2) | instskip(NEXT) | instid1(VALU_DEP_2)
	v_add_f32_e32 v7, v19, v7
	v_add_f32_e32 v5, v17, v5
	;; [unrolled: 1-line block ×3, first 2 shown]
	s_delay_alu instid0(VALU_DEP_3) | instskip(SKIP_1) | instid1(VALU_DEP_3)
	v_add_f32_e32 v7, v13, v7
	v_sub_f32_e32 v13, v172, v65
	v_add_f32_e32 v5, v17, v5
	s_delay_alu instid0(VALU_DEP_2) | instskip(SKIP_1) | instid1(VALU_DEP_3)
	v_dual_add_f32 v7, v15, v7 :: v_dual_add_f32 v4, v13, v4
	v_sub_f32_e32 v13, v198, v67
	v_add_f32_e32 v5, v16, v5
	s_delay_alu instid0(VALU_DEP_3) | instskip(NEXT) | instid1(VALU_DEP_3)
	v_add_f32_e32 v7, v9, v7
	v_dual_add_f32 v9, v70, v151 :: v_dual_add_f32 v4, v13, v4
	v_add_f32_e32 v13, v10, v8
	s_delay_alu instid0(VALU_DEP_2) | instskip(NEXT) | instid1(VALU_DEP_3)
	v_dual_add_f32 v11, v11, v7 :: v_dual_add_f32 v8, v9, v5
	v_add_f32_e32 v7, v12, v4
	s_delay_alu instid0(VALU_DEP_3) | instskip(SKIP_1) | instid1(VALU_DEP_4)
	v_add_f32_e32 v9, v44, v13
	v_add_lshl_u32 v4, v46, v14, 3
	v_dual_add_f32 v10, v45, v11 :: v_dual_add_f32 v5, v23, v20
	ds_store_2addr_b64 v4, v[9:10], v[7:8] offset1:1
	ds_store_2addr_b64 v4, v[5:6], v[86:87] offset0:2 offset1:3
	ds_store_2addr_b64 v4, v[84:85], v[96:97] offset0:4 offset1:5
	;; [unrolled: 1-line block ×7, first 2 shown]
	ds_store_b64 v4, v[2:3] offset:128
.LBB0_7:
	s_wait_alu 0xfffe
	s_or_b32 exec_lo, exec_lo, s4
	v_add_lshl_u32 v96, v46, v92, 3
	global_wb scope:SCOPE_SE
	s_wait_dscnt 0x0
	s_barrier_signal -1
	s_barrier_wait -1
	global_inv scope:SCOPE_SE
	v_add_nc_u32_e32 v4, 0x800, v96
	v_add_nc_u32_e32 v5, 0xc00, v96
	s_load_b64 s[8:9], s[0:1], 0x8
	ds_load_2addr_b64 v[12:15], v96 offset1:68
	ds_load_2addr_b64 v[28:31], v96 offset0:170 offset1:238
	ds_load_2addr_b64 v[24:27], v4 offset0:84 offset1:152
	;; [unrolled: 1-line block ×3, first 2 shown]
	v_cmp_gt_u16_e64 s0, 34, v92
	s_delay_alu instid0(VALU_DEP_1)
	s_and_saveexec_b32 s1, s0
	s_cbranch_execz .LBB0_9
; %bb.8:
	v_add_nc_u32_e32 v4, 0x400, v96
	v_add_nc_u32_e32 v5, 0xe00, v96
	ds_load_2addr_b64 v[40:43], v4 offset0:8 offset1:178
	ds_load_2addr_b64 v[36:39], v5 offset0:28 offset1:198
.LBB0_9:
	s_wait_alu 0xfffe
	s_or_b32 exec_lo, exec_lo, s1
	v_and_b32_e32 v4, 0xff, v92
	v_add_nc_u16 v6, v92, 0x44
	v_add_nc_u16 v7, v92, 0x88
	s_delay_alu instid0(VALU_DEP_3) | instskip(NEXT) | instid1(VALU_DEP_1)
	v_mul_lo_u16 v4, 0xf1, v4
	v_lshrrev_b16 v34, 12, v4
	s_delay_alu instid0(VALU_DEP_4) | instskip(NEXT) | instid1(VALU_DEP_2)
	v_and_b32_e32 v4, 0xff, v6
	v_mul_lo_u16 v5, v34, 17
	s_delay_alu instid0(VALU_DEP_2) | instskip(NEXT) | instid1(VALU_DEP_2)
	v_mul_lo_u16 v4, 0xf1, v4
	v_sub_nc_u16 v5, v92, v5
	s_delay_alu instid0(VALU_DEP_2) | instskip(NEXT) | instid1(VALU_DEP_2)
	v_lshrrev_b16 v35, 12, v4
	v_and_b32_e32 v44, 0xff, v5
	s_wait_kmcnt 0x0
	s_delay_alu instid0(VALU_DEP_1) | instskip(SKIP_4) | instid1(VALU_DEP_1)
	v_mad_co_u64_u32 v[4:5], null, v44, 24, s[8:9]
	s_clause 0x1
	global_load_b128 v[16:19], v[4:5], off
	global_load_b64 v[67:68], v[4:5], off offset:16
	v_and_b32_e32 v8, 0xff, v7
	v_mul_lo_u16 v8, 0xf1, v8
	s_delay_alu instid0(VALU_DEP_1) | instskip(SKIP_1) | instid1(VALU_DEP_2)
	v_lshrrev_b16 v45, 12, v8
	v_mul_lo_u16 v8, v35, 17
	v_mul_lo_u16 v9, v45, 17
	s_delay_alu instid0(VALU_DEP_2) | instskip(NEXT) | instid1(VALU_DEP_2)
	v_sub_nc_u16 v6, v6, v8
	v_sub_nc_u16 v7, v7, v9
	s_delay_alu instid0(VALU_DEP_2) | instskip(NEXT) | instid1(VALU_DEP_2)
	v_and_b32_e32 v47, 0xff, v6
	v_and_b32_e32 v97, 0xff, v7
	s_delay_alu instid0(VALU_DEP_2) | instskip(NEXT) | instid1(VALU_DEP_2)
	v_mad_co_u64_u32 v[4:5], null, v47, 24, s[8:9]
	v_mad_co_u64_u32 v[32:33], null, v97, 24, s[8:9]
	s_clause 0x3
	global_load_b128 v[8:11], v[4:5], off
	global_load_b64 v[65:66], v[4:5], off offset:16
	global_load_b128 v[4:7], v[32:33], off
	global_load_b64 v[63:64], v[32:33], off offset:16
	v_and_b32_e32 v33, 0xffff, v35
	v_and_b32_e32 v98, 0xffff, v45
	s_load_b128 s[4:7], s[2:3], 0x0
	global_wb scope:SCOPE_SE
	s_wait_loadcnt_dscnt 0x0
	s_wait_kmcnt 0x0
	s_barrier_signal -1
	s_barrier_wait -1
	global_inv scope:SCOPE_SE
	v_mul_f32_e32 v35, v24, v19
	v_dual_mul_f32 v45, v20, v68 :: v_dual_and_b32 v32, 0xffff, v34
	v_mul_f32_e32 v34, v25, v19
	s_delay_alu instid0(VALU_DEP_3) | instskip(NEXT) | instid1(VALU_DEP_3)
	v_fmac_f32_e32 v35, v25, v18
	v_fmac_f32_e32 v45, v21, v67
	s_delay_alu instid0(VALU_DEP_4) | instskip(NEXT) | instid1(VALU_DEP_4)
	v_mul_u32_u24_e32 v32, 0x44, v32
	v_fma_f32 v24, v24, v18, -v34
	v_mul_f32_e32 v25, v27, v11
	v_mul_f32_e32 v34, v23, v66
	v_mul_u32_u24_e32 v33, 0x44, v33
	v_dual_mul_f32 v48, v42, v5 :: v_dual_mul_f32 v49, v37, v7
	v_mul_f32_e32 v52, v38, v64
	v_mul_f32_e32 v50, v36, v7
	s_delay_alu instid0(VALU_DEP_4) | instskip(SKIP_2) | instid1(VALU_DEP_4)
	v_add_nc_u32_e32 v33, v33, v47
	v_mul_f32_e32 v51, v39, v64
	v_fma_f32 v25, v26, v10, -v25
	v_dual_mul_f32 v47, v43, v5 :: v_dual_fmac_f32 v50, v37, v6
	s_delay_alu instid0(VALU_DEP_4) | instskip(SKIP_1) | instid1(VALU_DEP_1)
	v_add_lshl_u32 v99, v46, v33, 3
	v_mul_f32_e32 v33, v28, v17
	v_fmac_f32_e32 v33, v29, v16
	v_add_nc_u32_e32 v32, v32, v44
	v_dual_mul_f32 v44, v21, v68 :: v_dual_mul_f32 v21, v31, v9
	s_delay_alu instid0(VALU_DEP_2) | instskip(SKIP_1) | instid1(VALU_DEP_3)
	v_add_lshl_u32 v100, v46, v32, 3
	v_mul_f32_e32 v32, v29, v17
	v_fma_f32 v20, v20, v67, -v44
	v_mul_f32_e32 v29, v30, v9
	v_mul_f32_e32 v44, v22, v66
	v_fma_f32 v30, v30, v8, -v21
	v_fma_f32 v28, v28, v16, -v32
	s_delay_alu instid0(VALU_DEP_4) | instskip(SKIP_1) | instid1(VALU_DEP_3)
	v_dual_mul_f32 v32, v26, v11 :: v_dual_fmac_f32 v29, v31, v8
	v_fma_f32 v22, v22, v65, -v34
	v_dual_fmac_f32 v44, v23, v65 :: v_dual_sub_f32 v21, v28, v20
	s_delay_alu instid0(VALU_DEP_3)
	v_dual_fmac_f32 v32, v27, v10 :: v_dual_sub_f32 v27, v13, v35
	v_sub_f32_e32 v20, v33, v45
	v_fma_f32 v31, v42, v4, -v47
	v_fma_f32 v23, v36, v6, -v49
	;; [unrolled: 1-line block ×3, first 2 shown]
	v_sub_f32_e32 v24, v12, v24
	v_fma_f32 v35, v13, 2.0, -v27
	v_fma_f32 v33, v33, 2.0, -v20
	v_dual_sub_f32 v36, v14, v25 :: v_dual_sub_f32 v37, v15, v32
	v_sub_f32_e32 v13, v41, v50
	v_fma_f32 v28, v28, 2.0, -v21
	v_add_f32_e32 v21, v27, v21
	v_fma_f32 v34, v12, 2.0, -v24
	v_sub_f32_e32 v20, v24, v20
	v_sub_f32_e32 v32, v30, v22
	v_sub_f32_e32 v38, v29, v44
	v_fma_f32 v44, v15, 2.0, -v37
	v_fma_f32 v15, v41, 2.0, -v13
	v_dual_sub_f32 v12, v40, v23 :: v_dual_sub_f32 v23, v35, v33
	v_fmac_f32_e32 v52, v39, v63
	v_sub_f32_e32 v39, v31, v26
	v_fmac_f32_e32 v48, v43, v4
	v_fma_f32 v25, v27, 2.0, -v21
	v_add_f32_e32 v27, v37, v32
	v_fma_f32 v43, v14, 2.0, -v36
	s_delay_alu instid0(VALU_DEP_4)
	v_dual_add_f32 v33, v13, v39 :: v_dual_sub_f32 v42, v48, v52
	v_fma_f32 v30, v30, 2.0, -v32
	v_fma_f32 v29, v29, 2.0, -v38
	v_sub_f32_e32 v26, v36, v38
	v_fma_f32 v14, v40, 2.0, -v12
	v_fma_f32 v38, v31, 2.0, -v39
	v_fma_f32 v40, v48, 2.0, -v42
	v_sub_f32_e32 v22, v34, v28
	v_dual_sub_f32 v30, v43, v30 :: v_dual_sub_f32 v31, v44, v29
	s_delay_alu instid0(VALU_DEP_3)
	v_dual_sub_f32 v38, v14, v38 :: v_dual_sub_f32 v39, v15, v40
	v_sub_f32_e32 v32, v12, v42
	v_fma_f32 v24, v24, 2.0, -v20
	v_fma_f32 v28, v34, 2.0, -v22
	;; [unrolled: 1-line block ×7, first 2 shown]
	ds_store_2addr_b64 v100, v[22:23], v[20:21] offset0:34 offset1:51
	ds_store_2addr_b64 v100, v[28:29], v[24:25] offset1:17
	ds_store_2addr_b64 v99, v[36:37], v[34:35] offset1:17
	ds_store_2addr_b64 v99, v[30:31], v[26:27] offset0:34 offset1:51
	s_and_saveexec_b32 s1, s0
	s_cbranch_execz .LBB0_11
; %bb.10:
	v_mul_u32_u24_e32 v20, 0x44, v98
	v_fma_f32 v13, v13, 2.0, -v33
	v_fma_f32 v12, v12, 2.0, -v32
	;; [unrolled: 1-line block ×4, first 2 shown]
	v_add_nc_u32_e32 v20, v20, v97
	s_delay_alu instid0(VALU_DEP_1)
	v_add_lshl_u32 v20, v46, v20, 3
	ds_store_2addr_b64 v20, v[14:15], v[12:13] offset1:17
	ds_store_2addr_b64 v20, v[38:39], v[32:33] offset0:34 offset1:51
.LBB0_11:
	s_wait_alu 0xfffe
	s_or_b32 exec_lo, exec_lo, s1
	v_mad_co_u64_u32 v[34:35], null, 0x48, v92, s[8:9]
	global_wb scope:SCOPE_SE
	s_wait_dscnt 0x0
	s_barrier_signal -1
	s_barrier_wait -1
	global_inv scope:SCOPE_SE
	v_lshl_add_u32 v95, v92, 3, v93
	s_clause 0x4
	global_load_b128 v[28:31], v[34:35], off offset:408
	global_load_b128 v[24:27], v[34:35], off offset:424
	global_load_b128 v[20:23], v[34:35], off offset:440
	global_load_b128 v[12:15], v[34:35], off offset:456
	global_load_b64 v[69:70], v[34:35], off offset:472
	ds_load_2addr_b64 v[40:43], v96 offset1:68
	v_add_nc_u32_e32 v34, 0x800, v96
	s_wait_loadcnt_dscnt 0x400
	v_dual_mul_f32 v36, v43, v29 :: v_dual_add_nc_u32 v35, 0x400, v95
	v_mul_f32_e32 v37, v42, v29
	ds_load_2addr_b64 v[44:47], v96 offset0:136 offset1:204
	ds_load_2addr_b64 v[48:51], v34 offset0:16 offset1:220
	;; [unrolled: 1-line block ×3, first 2 shown]
	v_add_nc_u32_e32 v34, 0x1000, v96
	v_add_nc_u32_e32 v75, 0xc00, v95
	v_fma_f32 v36, v42, v28, -v36
	v_fmac_f32_e32 v37, v43, v28
	s_wait_loadcnt_dscnt 0x302
	v_dual_mul_f32 v78, v47, v25 :: v_dual_mul_f32 v77, v44, v31
	ds_load_2addr_b64 v[71:74], v34 offset0:32 offset1:100
	s_wait_loadcnt_dscnt 0x201
	v_dual_mul_f32 v76, v45, v31 :: v_dual_mul_f32 v83, v52, v21
	s_wait_loadcnt 0x1
	v_dual_mul_f32 v80, v49, v27 :: v_dual_mul_f32 v87, v50, v13
	v_dual_mul_f32 v81, v48, v27 :: v_dual_mul_f32 v82, v53, v21
	v_mul_f32_e32 v84, v55, v23
	v_dual_mul_f32 v85, v54, v23 :: v_dual_mul_f32 v86, v51, v13
	v_fma_f32 v42, v44, v30, -v76
	v_fma_f32 v44, v48, v26, -v80
	v_dual_mul_f32 v79, v46, v25 :: v_dual_add_nc_u32 v34, 0x800, v95
	v_fmac_f32_e32 v77, v45, v30
	v_fma_f32 v43, v46, v24, -v78
	v_fma_f32 v45, v52, v20, -v82
	v_fmac_f32_e32 v83, v53, v20
	v_fmac_f32_e32 v79, v47, v24
	v_fma_f32 v47, v50, v12, -v86
	v_add_f32_e32 v50, v40, v42
	s_wait_dscnt 0x0
	v_mul_f32_e32 v88, v72, v15
	s_wait_loadcnt 0x0
	v_dual_mul_f32 v101, v71, v15 :: v_dual_mul_f32 v102, v74, v70
	v_mul_f32_e32 v103, v73, v70
	v_fma_f32 v46, v54, v22, -v84
	v_fma_f32 v48, v71, v14, -v88
	v_fmac_f32_e32 v81, v49, v26
	v_dual_fmac_f32 v101, v72, v14 :: v_dual_sub_f32 v54, v42, v44
	v_fmac_f32_e32 v85, v55, v22
	v_fmac_f32_e32 v87, v51, v12
	v_fma_f32 v49, v73, v69, -v102
	v_dual_fmac_f32 v103, v74, v69 :: v_dual_sub_f32 v78, v44, v46
	v_dual_sub_f32 v52, v77, v101 :: v_dual_add_f32 v71, v42, v48
	v_sub_f32_e32 v72, v44, v42
	v_add_f32_e32 v74, v41, v77
	v_dual_sub_f32 v42, v42, v48 :: v_dual_add_f32 v51, v44, v46
	v_sub_f32_e32 v80, v77, v81
	v_dual_sub_f32 v53, v81, v85 :: v_dual_add_f32 v88, v36, v43
	v_dual_add_f32 v76, v81, v85 :: v_dual_sub_f32 v73, v46, v48
	v_sub_f32_e32 v86, v85, v101
	v_dual_add_f32 v84, v77, v101 :: v_dual_sub_f32 v55, v48, v46
	v_sub_f32_e32 v82, v101, v85
	v_dual_sub_f32 v77, v81, v77 :: v_dual_sub_f32 v104, v79, v103
	v_add_f32_e32 v102, v45, v47
	v_dual_sub_f32 v105, v83, v87 :: v_dual_add_f32 v44, v50, v44
	v_dual_sub_f32 v106, v43, v45 :: v_dual_sub_f32 v107, v49, v47
	v_dual_add_f32 v108, v43, v49 :: v_dual_sub_f32 v109, v45, v43
	v_dual_sub_f32 v110, v47, v49 :: v_dual_add_f32 v111, v37, v79
	v_add_f32_e32 v112, v83, v87
	v_sub_f32_e32 v113, v45, v47
	v_dual_add_f32 v116, v79, v103 :: v_dual_add_f32 v45, v88, v45
	v_fma_f32 v118, -0.5, v51, v40
	v_fma_f32 v119, -0.5, v71, v40
	v_add_f32_e32 v40, v72, v73
	v_add_f32_e32 v51, v74, v81
	v_fma_f32 v73, -0.5, v76, v41
	v_fma_f32 v74, -0.5, v84, v41
	v_sub_f32_e32 v43, v43, v49
	v_dual_sub_f32 v114, v79, v83 :: v_dual_add_f32 v41, v77, v86
	v_sub_f32_e32 v115, v103, v87
	v_sub_f32_e32 v79, v83, v79
	v_add_f32_e32 v50, v54, v55
	v_add_f32_e32 v54, v80, v82
	v_fma_f32 v55, -0.5, v102, v36
	v_dual_add_f32 v71, v106, v107 :: v_dual_add_f32 v44, v44, v46
	v_fmac_f32_e32 v36, -0.5, v108
	v_dual_add_f32 v76, v111, v83 :: v_dual_fmamk_f32 v81, v53, 0xbf737871, v119
	v_fma_f32 v77, -0.5, v112, v37
	v_dual_fmac_f32 v37, -0.5, v116 :: v_dual_fmamk_f32 v46, v52, 0x3f737871, v118
	v_fmac_f32_e32 v119, 0x3f737871, v53
	v_dual_fmac_f32 v118, 0xbf737871, v52 :: v_dual_add_f32 v51, v51, v85
	v_dual_fmamk_f32 v82, v42, 0xbf737871, v73 :: v_dual_add_f32 v45, v45, v47
	v_fmac_f32_e32 v73, 0x3f737871, v42
	v_dual_fmamk_f32 v83, v78, 0x3f737871, v74 :: v_dual_add_f32 v76, v76, v87
	v_dual_fmac_f32 v74, 0xbf737871, v78 :: v_dual_sub_f32 v117, v87, v103
	v_dual_add_f32 v72, v109, v110 :: v_dual_fmamk_f32 v47, v104, 0x3f737871, v55
	v_dual_fmac_f32 v55, 0xbf737871, v104 :: v_dual_fmamk_f32 v84, v105, 0xbf737871, v36
	v_fmamk_f32 v85, v43, 0xbf737871, v77
	v_dual_fmac_f32 v36, 0x3f737871, v105 :: v_dual_fmac_f32 v77, 0x3f737871, v43
	v_add_f32_e32 v44, v44, v48
	v_fmamk_f32 v86, v113, 0x3f737871, v37
	v_dual_fmac_f32 v46, 0x3f167918, v53 :: v_dual_fmac_f32 v81, 0x3f167918, v52
	v_dual_fmac_f32 v118, 0xbf167918, v53 :: v_dual_fmac_f32 v119, 0xbf167918, v52
	v_dual_add_f32 v48, v51, v101 :: v_dual_fmac_f32 v73, 0x3f167918, v78
	v_dual_fmac_f32 v83, 0xbf167918, v42 :: v_dual_fmac_f32 v36, 0xbf167918, v104
	v_dual_fmac_f32 v74, 0x3f167918, v42 :: v_dual_fmac_f32 v47, 0x3f167918, v105
	v_add_f32_e32 v42, v45, v49
	v_dual_fmac_f32 v37, 0xbf737871, v113 :: v_dual_add_f32 v80, v114, v115
	v_dual_add_f32 v79, v79, v117 :: v_dual_fmac_f32 v82, 0xbf167918, v78
	v_fmac_f32_e32 v55, 0xbf167918, v105
	v_dual_fmac_f32 v84, 0x3f167918, v104 :: v_dual_fmac_f32 v77, 0x3f167918, v113
	v_add_f32_e32 v45, v76, v103
	v_dual_fmac_f32 v85, 0xbf167918, v113 :: v_dual_fmac_f32 v86, 0xbf167918, v43
	v_dual_fmac_f32 v46, 0x3e9e377a, v50 :: v_dual_fmac_f32 v81, 0x3e9e377a, v40
	;; [unrolled: 1-line block ×3, first 2 shown]
	v_dual_sub_f32 v40, v44, v42 :: v_dual_fmac_f32 v37, 0x3f167918, v43
	v_dual_fmac_f32 v47, 0x3e9e377a, v71 :: v_dual_fmac_f32 v84, 0x3e9e377a, v72
	v_dual_fmac_f32 v55, 0x3e9e377a, v71 :: v_dual_fmac_f32 v36, 0x3e9e377a, v72
	;; [unrolled: 1-line block ×3, first 2 shown]
	s_delay_alu instid0(VALU_DEP_4) | instskip(SKIP_2) | instid1(VALU_DEP_4)
	v_dual_add_f32 v72, v48, v45 :: v_dual_fmac_f32 v37, 0x3e9e377a, v79
	v_dual_fmac_f32 v82, 0x3e9e377a, v54 :: v_dual_fmac_f32 v83, 0x3e9e377a, v41
	v_dual_fmac_f32 v73, 0x3e9e377a, v54 :: v_dual_fmac_f32 v74, 0x3e9e377a, v41
	v_dual_add_f32 v71, v44, v42 :: v_dual_mul_f32 v42, 0x3f167918, v85
	v_dual_sub_f32 v41, v48, v45 :: v_dual_mul_f32 v76, 0xbf167918, v47
	v_mul_f32_e32 v44, 0x3e9e377a, v36
	v_dual_fmac_f32 v77, 0x3e9e377a, v80 :: v_dual_mul_f32 v48, 0x3e9e377a, v37
	s_delay_alu instid0(VALU_DEP_3) | instskip(NEXT) | instid1(VALU_DEP_2)
	v_dual_mul_f32 v45, 0x3f4f1bbd, v55 :: v_dual_fmac_f32 v76, 0x3f4f1bbd, v85
	v_dual_fmac_f32 v42, 0x3f4f1bbd, v47 :: v_dual_mul_f32 v49, 0x3f4f1bbd, v77
	s_delay_alu instid0(VALU_DEP_4)
	v_fma_f32 v37, 0x3f737871, v37, -v44
	v_mul_f32_e32 v43, 0x3f737871, v86
	v_fma_f32 v47, 0xbf737871, v36, -v48
	v_mul_f32_e32 v78, 0xbf737871, v84
	v_fma_f32 v45, 0x3f167918, v77, -v45
	v_fma_f32 v77, 0xbf167918, v55, -v49
	s_delay_alu instid0(VALU_DEP_4) | instskip(NEXT) | instid1(VALU_DEP_4)
	v_dual_add_f32 v48, v119, v37 :: v_dual_add_f32 v49, v74, v47
	v_dual_fmac_f32 v43, 0x3e9e377a, v84 :: v_dual_fmac_f32 v78, 0x3e9e377a, v86
	s_delay_alu instid0(VALU_DEP_3) | instskip(SKIP_1) | instid1(VALU_DEP_3)
	v_dual_add_f32 v52, v46, v42 :: v_dual_add_f32 v51, v73, v77
	v_add_f32_e32 v50, v118, v45
	v_dual_add_f32 v54, v81, v43 :: v_dual_add_f32 v53, v82, v76
	s_delay_alu instid0(VALU_DEP_4)
	v_add_f32_e32 v55, v83, v78
	v_sub_f32_e32 v42, v46, v42
	v_dual_sub_f32 v44, v81, v43 :: v_dual_sub_f32 v43, v82, v76
	v_dual_sub_f32 v46, v119, v37 :: v_dual_sub_f32 v47, v74, v47
	;; [unrolled: 1-line block ×3, first 2 shown]
	v_sub_f32_e32 v37, v73, v77
	ds_store_b64 v95, v[71:72]
	ds_store_2addr_b64 v95, v[52:53], v[54:55] offset0:68 offset1:136
	ds_store_2addr_b64 v35, v[48:49], v[50:51] offset0:76 offset1:144
	;; [unrolled: 1-line block ×4, first 2 shown]
	ds_store_b64 v95, v[36:37] offset:4896
	global_wb scope:SCOPE_SE
	s_wait_dscnt 0x0
	s_barrier_signal -1
	s_barrier_wait -1
	global_inv scope:SCOPE_SE
	s_and_saveexec_b32 s1, vcc_lo
	s_cbranch_execz .LBB0_13
; %bb.12:
	global_load_b64 v[73:74], v90, s[12:13] offset:5440
	s_add_nc_u64 s[2:3], s[12:13], 0x1540
	s_clause 0xf
	global_load_b64 v[117:118], v90, s[2:3] offset:320
	global_load_b64 v[119:120], v90, s[2:3] offset:640
	;; [unrolled: 1-line block ×16, first 2 shown]
	ds_load_b64 v[75:76], v95
	s_wait_loadcnt_dscnt 0x1000
	v_mul_f32_e32 v35, v76, v74
	v_mul_f32_e32 v78, v75, v74
	s_delay_alu instid0(VALU_DEP_2) | instskip(NEXT) | instid1(VALU_DEP_2)
	v_fma_f32 v77, v75, v73, -v35
	v_dual_fmac_f32 v78, v76, v73 :: v_dual_add_nc_u32 v35, 0x1000, v95
	ds_store_b64 v95, v[77:78]
	ds_load_2addr_b64 v[73:76], v95 offset0:40 offset1:80
	ds_load_2addr_b64 v[77:80], v95 offset0:120 offset1:160
	;; [unrolled: 1-line block ×8, first 2 shown]
	s_wait_loadcnt_dscnt 0xf07
	v_mul_f32_e32 v149, v73, v118
	s_wait_loadcnt 0xe
	v_dual_mul_f32 v150, v74, v118 :: v_dual_mul_f32 v151, v76, v120
	v_mul_f32_e32 v118, v75, v120
	s_wait_loadcnt_dscnt 0xc06
	v_dual_mul_f32 v152, v78, v122 :: v_dual_mul_f32 v153, v80, v124
	s_wait_loadcnt_dscnt 0xa05
	v_dual_mul_f32 v120, v77, v122 :: v_dual_mul_f32 v155, v84, v128
	v_dual_mul_f32 v122, v79, v124 :: v_dual_fmac_f32 v149, v74, v117
	s_wait_loadcnt_dscnt 0x804
	v_dual_mul_f32 v154, v82, v126 :: v_dual_mul_f32 v157, v88, v132
	s_wait_loadcnt_dscnt 0x603
	v_dual_mul_f32 v124, v81, v126 :: v_dual_mul_f32 v159, v104, v136
	v_mul_f32_e32 v126, v83, v128
	s_wait_loadcnt_dscnt 0x402
	v_dual_mul_f32 v156, v86, v130 :: v_dual_mul_f32 v161, v108, v140
	s_wait_loadcnt_dscnt 0x201
	v_dual_mul_f32 v128, v85, v130 :: v_dual_mul_f32 v163, v112, v144
	v_mul_f32_e32 v130, v87, v132
	s_wait_loadcnt_dscnt 0x0
	v_dual_mul_f32 v158, v102, v134 :: v_dual_mul_f32 v165, v116, v148
	v_mul_f32_e32 v132, v101, v134
	v_mul_f32_e32 v134, v103, v136
	;; [unrolled: 1-line block ×11, first 2 shown]
	v_fma_f32 v148, v73, v117, -v150
	v_fma_f32 v117, v75, v119, -v151
	v_fmac_f32_e32 v118, v76, v119
	v_fma_f32 v119, v77, v121, -v152
	v_fmac_f32_e32 v120, v78, v121
	;; [unrolled: 2-line block ×15, first 2 shown]
	ds_store_2addr_b64 v95, v[148:149], v[117:118] offset0:40 offset1:80
	ds_store_2addr_b64 v95, v[119:120], v[121:122] offset0:120 offset1:160
	;; [unrolled: 1-line block ×8, first 2 shown]
.LBB0_13:
	s_wait_alu 0xfffe
	s_or_b32 exec_lo, exec_lo, s1
	global_wb scope:SCOPE_SE
	s_wait_dscnt 0x0
	s_barrier_signal -1
	s_barrier_wait -1
	global_inv scope:SCOPE_SE
	s_and_saveexec_b32 s1, vcc_lo
	s_cbranch_execz .LBB0_15
; %bb.14:
	v_add_nc_u32_e32 v36, 0x800, v95
	v_add_nc_u32_e32 v0, 0x1000, v95
	ds_load_2addr_b64 v[32:35], v36 offset0:184 offset1:224
	ds_load_2addr_b64 v[73:76], v0 offset0:8 offset1:48
	;; [unrolled: 1-line block ×3, first 2 shown]
	ds_load_b64 v[71:72], v95
	ds_load_2addr_b64 v[52:55], v95 offset0:40 offset1:80
	ds_load_2addr_b64 v[48:51], v95 offset0:120 offset1:160
	;; [unrolled: 1-line block ×5, first 2 shown]
	s_wait_dscnt 0x8
	v_mov_b32_e32 v61, v34
	s_wait_dscnt 0x7
	v_dual_mov_b32 v59, v73 :: v_dual_mov_b32 v62, v35
	v_dual_mov_b32 v57, v75 :: v_dual_mov_b32 v60, v74
	v_mov_b32_e32 v58, v76
.LBB0_15:
	s_wait_alu 0xfffe
	s_or_b32 exec_lo, exec_lo, s1
	s_wait_dscnt 0x4
	v_dual_sub_f32 v117, v53, v3 :: v_dual_add_f32 v120, v3, v53
	v_dual_add_f32 v101, v2, v52 :: v_dual_sub_f32 v102, v52, v2
	v_sub_f32_e32 v104, v54, v0
	s_delay_alu instid0(VALU_DEP_3)
	v_dual_sub_f32 v118, v55, v1 :: v_dual_mul_f32 v85, 0xbf59a7d5, v120
	v_add_f32_e32 v122, v1, v55
	v_mul_f32_e32 v34, 0xbf4c4adb, v117
	s_wait_dscnt 0x0
	v_add_f32_e32 v131, v39, v45
	v_dual_add_f32 v103, v0, v54 :: v_dual_fmamk_f32 v78, v102, 0xbf06c442, v85
	v_mul_f32_e32 v35, 0xbf1a4643, v120
	v_mul_f32_e32 v83, 0xbe8c1d8e, v122
	v_fma_f32 v75, 0xbf1a4643, v101, -v34
	v_mul_f32_e32 v154, 0xbe8c1d8e, v131
	v_add_f32_e32 v78, v72, v78
	v_fmamk_f32 v76, v102, 0xbf4c4adb, v35
	v_mul_f32_e32 v73, 0xbe3c28d5, v117
	v_fmamk_f32 v87, v104, 0x3f763a35, v83
	v_add_f32_e32 v75, v71, v75
	s_delay_alu instid0(VALU_DEP_4) | instskip(NEXT) | instid1(VALU_DEP_4)
	v_dual_sub_f32 v127, v45, v39 :: v_dual_add_f32 v76, v72, v76
	v_dual_mul_f32 v74, 0xbf7ba420, v120 :: v_dual_fmamk_f32 v79, v101, 0xbf7ba420, v73
	v_fma_f32 v73, 0xbf7ba420, v101, -v73
	v_mul_f32_e32 v82, 0xbf06c442, v117
	s_delay_alu instid0(VALU_DEP_4) | instskip(NEXT) | instid1(VALU_DEP_3)
	v_dual_mul_f32 v133, 0x3ee437d1, v122 :: v_dual_add_f32 v76, v87, v76
	v_dual_fmamk_f32 v80, v102, 0x3e3c28d5, v74 :: v_dual_add_f32 v73, v71, v73
	v_mul_f32_e32 v81, 0x3f763a35, v118
	v_add_f32_e32 v79, v71, v79
	v_fma_f32 v77, 0xbf59a7d5, v101, -v82
	s_delay_alu instid0(VALU_DEP_4) | instskip(SKIP_2) | instid1(VALU_DEP_4)
	v_add_f32_e32 v80, v72, v80
	v_dual_mul_f32 v86, 0x3f65296c, v118 :: v_dual_fmamk_f32 v87, v104, 0x3f65296c, v133
	v_fma_f32 v84, 0xbe8c1d8e, v103, -v81
	v_dual_add_f32 v77, v71, v77 :: v_dual_fmac_f32 v74, 0xbe3c28d5, v102
	global_wb scope:SCOPE_SE
	s_barrier_signal -1
	v_add_f32_e32 v75, v84, v75
	v_fma_f32 v84, 0x3ee437d1, v103, -v86
	v_mul_f32_e32 v88, 0x3eb8f4ab, v118
	s_barrier_wait -1
	global_inv scope:SCOPE_SE
	v_sub_f32_e32 v121, v51, v60
	v_add_f32_e32 v77, v84, v77
	v_dual_add_f32 v74, v72, v74 :: v_dual_fmamk_f32 v105, v103, 0x3f6eb680, v88
	v_mul_f32_e32 v106, 0x3f6eb680, v122
	v_fma_f32 v88, 0x3f6eb680, v103, -v88
	v_add_f32_e32 v126, v60, v51
	s_delay_alu instid0(VALU_DEP_4) | instskip(SKIP_3) | instid1(VALU_DEP_3)
	v_dual_add_f32 v130, v62, v41 :: v_dual_add_f32 v79, v105, v79
	v_sub_f32_e32 v119, v49, v58
	v_dual_add_f32 v78, v87, v78 :: v_dual_fmamk_f32 v87, v104, 0xbeb8f4ab, v106
	v_fmac_f32_e32 v106, 0x3eb8f4ab, v104
	v_dual_add_f32 v105, v57, v48 :: v_dual_mul_f32 v84, 0xbeb8f4ab, v119
	v_mul_f32_e32 v136, 0xbf7ee86f, v119
	s_delay_alu instid0(VALU_DEP_4) | instskip(NEXT) | instid1(VALU_DEP_4)
	v_dual_add_f32 v80, v87, v80 :: v_dual_add_f32 v73, v88, v73
	v_add_f32_e32 v74, v106, v74
	s_delay_alu instid0(VALU_DEP_4)
	v_fma_f32 v87, 0x3f6eb680, v105, -v84
	v_add_f32_e32 v124, v58, v49
	v_fma_f32 v108, 0x3dbcf732, v105, -v136
	v_mul_f32_e32 v141, 0xbf1a4643, v126
	v_dual_mul_f32 v145, 0x3f6eb680, v130 :: v_dual_add_f32 v128, v33, v43
	v_dual_add_f32 v75, v87, v75 :: v_dual_sub_f32 v106, v48, v57
	v_mul_f32_e32 v109, 0xbf59a7d5, v124
	v_dual_mul_f32 v88, 0x3f6eb680, v124 :: v_dual_add_f32 v77, v108, v77
	v_mul_f32_e32 v87, 0xbf06c442, v119
	v_dual_sub_f32 v108, v50, v59 :: v_dual_sub_f32 v125, v43, v33
	s_delay_alu instid0(VALU_DEP_3) | instskip(SKIP_1) | instid1(VALU_DEP_2)
	v_fmamk_f32 v107, v106, 0xbeb8f4ab, v88
	v_sub_f32_e32 v123, v41, v62
	v_dual_fmamk_f32 v111, v105, 0xbf59a7d5, v87 :: v_dual_add_f32 v76, v107, v76
	s_delay_alu instid0(VALU_DEP_1) | instskip(SKIP_3) | instid1(VALU_DEP_4)
	v_dual_mul_f32 v138, 0x3dbcf732, v124 :: v_dual_add_f32 v79, v111, v79
	v_fmamk_f32 v107, v106, 0x3f06c442, v109
	v_fmac_f32_e32 v109, 0xbf06c442, v106
	v_mul_f32_e32 v142, 0xbeb8f4ab, v123
	v_fmamk_f32 v110, v106, 0xbf7ee86f, v138
	s_delay_alu instid0(VALU_DEP_3) | instskip(SKIP_2) | instid1(VALU_DEP_4)
	v_add_f32_e32 v74, v109, v74
	v_add_f32_e32 v80, v107, v80
	;; [unrolled: 1-line block ×4, first 2 shown]
	v_fma_f32 v110, 0xbf59a7d5, v105, -v87
	v_mul_f32_e32 v87, 0xbf06c442, v121
	s_delay_alu instid0(VALU_DEP_2) | instskip(NEXT) | instid1(VALU_DEP_2)
	v_add_f32_e32 v73, v110, v73
	v_fma_f32 v110, 0xbf59a7d5, v107, -v87
	s_delay_alu instid0(VALU_DEP_1) | instskip(NEXT) | instid1(VALU_DEP_1)
	v_dual_mul_f32 v134, 0xbf59a7d5, v126 :: v_dual_add_f32 v75, v110, v75
	v_fmamk_f32 v109, v108, 0xbf06c442, v134
	v_mul_f32_e32 v137, 0x3f4c4adb, v121
	v_mul_f32_e32 v110, 0x3f2c7751, v121
	;; [unrolled: 1-line block ×3, first 2 shown]
	s_delay_alu instid0(VALU_DEP_4) | instskip(NEXT) | instid1(VALU_DEP_4)
	v_add_f32_e32 v76, v109, v76
	v_fma_f32 v111, 0xbf1a4643, v107, -v137
	s_delay_alu instid0(VALU_DEP_4) | instskip(SKIP_2) | instid1(VALU_DEP_4)
	v_fmamk_f32 v113, v107, 0x3f3d2fb0, v110
	v_fmamk_f32 v109, v108, 0x3f4c4adb, v141
	v_fma_f32 v110, 0x3f3d2fb0, v107, -v110
	v_add_f32_e32 v77, v111, v77
	s_delay_alu instid0(VALU_DEP_4) | instskip(NEXT) | instid1(VALU_DEP_4)
	v_add_f32_e32 v79, v113, v79
	v_add_f32_e32 v78, v109, v78
	v_add_f32_e32 v109, v61, v40
	v_add_f32_e32 v73, v110, v73
	v_dual_sub_f32 v110, v40, v61 :: v_dual_mul_f32 v113, 0xbf1a4643, v130
	s_delay_alu instid0(VALU_DEP_3) | instskip(NEXT) | instid1(VALU_DEP_2)
	v_fma_f32 v114, 0x3f6eb680, v109, -v142
	v_fmamk_f32 v115, v110, 0xbeb8f4ab, v145
	v_fmamk_f32 v111, v108, 0xbf2c7751, v112
	v_fmac_f32_e32 v112, 0x3f2c7751, v108
	v_mul_f32_e32 v135, 0x3f7ee86f, v123
	v_fmamk_f32 v116, v110, 0x3f4c4adb, v113
	v_add_f32_e32 v78, v115, v78
	v_add_f32_e32 v80, v111, v80
	;; [unrolled: 1-line block ×3, first 2 shown]
	v_fma_f32 v111, 0x3dbcf732, v109, -v135
	v_mul_f32_e32 v139, 0x3dbcf732, v130
	v_dual_mul_f32 v112, 0xbf4c4adb, v123 :: v_dual_add_f32 v77, v114, v77
	s_delay_alu instid0(VALU_DEP_3) | instskip(SKIP_1) | instid1(VALU_DEP_4)
	v_dual_add_f32 v80, v116, v80 :: v_dual_add_f32 v75, v111, v75
	v_fmac_f32_e32 v113, 0xbf4c4adb, v110
	v_fmamk_f32 v111, v110, 0x3f7ee86f, v139
	s_delay_alu instid0(VALU_DEP_4)
	v_fma_f32 v114, 0xbf1a4643, v109, -v112
	v_mul_f32_e32 v116, 0x3ee437d1, v128
	v_mul_f32_e32 v140, 0xbf2c7751, v125
	v_add_f32_e32 v74, v113, v74
	v_dual_add_f32 v76, v111, v76 :: v_dual_fmamk_f32 v111, v109, 0xbf1a4643, v112
	v_add_f32_e32 v73, v114, v73
	v_mul_f32_e32 v147, 0xbe3c28d5, v125
	v_mul_f32_e32 v114, 0x3f65296c, v125
	s_delay_alu instid0(VALU_DEP_4) | instskip(SKIP_2) | instid1(VALU_DEP_2)
	v_dual_sub_f32 v112, v42, v32 :: v_dual_add_f32 v79, v111, v79
	v_add_f32_e32 v111, v32, v42
	v_mul_f32_e32 v143, 0x3f3d2fb0, v128
	v_fma_f32 v115, 0x3f3d2fb0, v111, -v140
	s_delay_alu instid0(VALU_DEP_2) | instskip(NEXT) | instid1(VALU_DEP_2)
	v_fmamk_f32 v113, v112, 0xbf2c7751, v143
	v_add_f32_e32 v75, v115, v75
	v_fma_f32 v115, 0xbf7ba420, v111, -v147
	s_delay_alu instid0(VALU_DEP_1) | instskip(SKIP_3) | instid1(VALU_DEP_3)
	v_dual_add_f32 v76, v113, v76 :: v_dual_add_f32 v77, v115, v77
	v_fmamk_f32 v115, v112, 0xbf65296c, v116
	v_fmac_f32_e32 v116, 0x3f65296c, v112
	v_fmamk_f32 v129, v111, 0x3ee437d1, v114
	v_add_f32_e32 v80, v115, v80
	s_delay_alu instid0(VALU_DEP_3) | instskip(SKIP_2) | instid1(VALU_DEP_1)
	v_add_f32_e32 v74, v116, v74
	v_fma_f32 v115, 0x3ee437d1, v111, -v114
	v_sub_f32_e32 v114, v44, v38
	v_fmamk_f32 v148, v114, 0x3f763a35, v154
	v_mul_f32_e32 v116, 0xbf763a35, v127
	v_dual_mul_f32 v151, 0xbf7ba420, v128 :: v_dual_mul_f32 v146, 0xbf7ba420, v131
	v_mul_f32_e32 v144, 0xbe3c28d5, v127
	s_delay_alu instid0(VALU_DEP_4) | instskip(NEXT) | instid1(VALU_DEP_3)
	v_dual_add_f32 v79, v129, v79 :: v_dual_add_f32 v80, v148, v80
	v_fmamk_f32 v113, v112, 0xbe3c28d5, v151
	v_mul_f32_e32 v150, 0x3f2c7751, v127
	v_mul_f32_e32 v152, 0x3f3d2fb0, v131
	s_delay_alu instid0(VALU_DEP_3) | instskip(SKIP_2) | instid1(VALU_DEP_3)
	v_dual_add_f32 v78, v113, v78 :: v_dual_add_f32 v113, v38, v44
	v_add_f32_e32 v73, v115, v73
	v_fmamk_f32 v115, v114, 0xbe3c28d5, v146
	v_fma_f32 v129, 0xbf7ba420, v113, -v144
	v_fmamk_f32 v132, v113, 0xbe8c1d8e, v116
	v_fma_f32 v155, 0xbe8c1d8e, v113, -v116
	v_sub_f32_e32 v116, v46, v36
	s_delay_alu instid0(VALU_DEP_4) | instskip(SKIP_3) | instid1(VALU_DEP_3)
	v_dual_add_f32 v76, v115, v76 :: v_dual_add_f32 v75, v129, v75
	v_fma_f32 v129, 0x3f3d2fb0, v113, -v150
	v_add_f32_e32 v79, v132, v79
	v_add_f32_e32 v132, v37, v47
	;; [unrolled: 1-line block ×3, first 2 shown]
	v_dual_sub_f32 v129, v47, v37 :: v_dual_fmac_f32 v154, 0xbf763a35, v114
	s_delay_alu instid0(VALU_DEP_3) | instskip(NEXT) | instid1(VALU_DEP_2)
	v_mul_f32_e32 v158, 0x3dbcf732, v132
	v_dual_mul_f32 v148, 0x3f65296c, v129 :: v_dual_add_f32 v157, v154, v74
	s_delay_alu instid0(VALU_DEP_2)
	v_fmamk_f32 v159, v116, 0xbf7ee86f, v158
	v_fmamk_f32 v115, v114, 0x3f2c7751, v152
	v_mul_f32_e32 v154, 0xbe8c1d8e, v132
	v_fmac_f32_e32 v158, 0x3f7ee86f, v116
	v_mul_f32_e32 v149, 0x3ee437d1, v132
	v_add_f32_e32 v155, v155, v73
	v_add_f32_e32 v78, v115, v78
	;; [unrolled: 1-line block ×3, first 2 shown]
	s_delay_alu instid0(VALU_DEP_4) | instskip(SKIP_1) | instid1(VALU_DEP_3)
	v_fmamk_f32 v74, v116, 0x3f65296c, v149
	v_mul_f32_e32 v153, 0xbf763a35, v129
	v_fma_f32 v156, 0x3ee437d1, v115, -v148
	s_delay_alu instid0(VALU_DEP_1) | instskip(SKIP_1) | instid1(VALU_DEP_4)
	v_dual_add_f32 v74, v74, v76 :: v_dual_add_f32 v73, v156, v75
	v_mul_f32_e32 v156, 0x3f7ee86f, v129
	v_fma_f32 v75, 0xbe8c1d8e, v115, -v153
	s_delay_alu instid0(VALU_DEP_2) | instskip(NEXT) | instid1(VALU_DEP_2)
	v_fmamk_f32 v76, v115, 0x3dbcf732, v156
	v_add_f32_e32 v77, v75, v77
	v_fmamk_f32 v75, v116, 0xbf763a35, v154
	v_fma_f32 v156, 0x3dbcf732, v115, -v156
	s_delay_alu instid0(VALU_DEP_2) | instskip(NEXT) | instid1(VALU_DEP_2)
	v_dual_add_f32 v78, v75, v78 :: v_dual_add_f32 v75, v76, v79
	v_dual_add_f32 v76, v159, v80 :: v_dual_add_f32 v79, v156, v155
	v_add_f32_e32 v80, v158, v157
	s_and_saveexec_b32 s1, vcc_lo
	s_cbranch_execz .LBB0_17
; %bb.16:
	v_mul_f32_e32 v157, 0xbf59a7d5, v101
	v_mul_f32_e32 v166, 0xbf7ee86f, v106
	;; [unrolled: 1-line block ×5, first 2 shown]
	v_dual_add_f32 v82, v157, v82 :: v_dual_mul_f32 v175, 0xbf7ba420, v111
	s_delay_alu instid0(VALU_DEP_4) | instskip(SKIP_2) | instid1(VALU_DEP_4)
	v_sub_f32_e32 v133, v133, v162
	v_mul_f32_e32 v158, 0xbf06c442, v102
	v_mul_f32_e32 v160, 0x3f763a35, v104
	v_dual_add_f32 v82, v71, v82 :: v_dual_mul_f32 v161, 0x3ee437d1, v103
	v_mul_f32_e32 v159, 0xbe8c1d8e, v103
	s_delay_alu instid0(VALU_DEP_4) | instskip(SKIP_2) | instid1(VALU_DEP_3)
	v_sub_f32_e32 v85, v85, v158
	v_mul_f32_e32 v156, 0xbf4c4adb, v102
	v_dual_mul_f32 v162, 0x3f3d2fb0, v111 :: v_dual_mul_f32 v177, 0x3f3d2fb0, v113
	v_dual_add_f32 v86, v161, v86 :: v_dual_add_f32 v85, v72, v85
	v_dual_mul_f32 v161, 0xbe8c1d8e, v115 :: v_dual_add_f32 v34, v155, v34
	s_delay_alu instid0(VALU_DEP_2) | instskip(SKIP_1) | instid1(VALU_DEP_4)
	v_dual_sub_f32 v35, v35, v156 :: v_dual_add_f32 v82, v86, v82
	v_mul_f32_e32 v165, 0x3dbcf732, v105
	v_add_f32_e32 v85, v133, v85
	v_dual_sub_f32 v133, v138, v166 :: v_dual_mul_f32 v138, 0xbf7ba420, v113
	v_mul_f32_e32 v173, 0xbeb8f4ab, v110
	v_mul_f32_e32 v170, 0x3f4c4adb, v108
	v_dual_mul_f32 v163, 0x3f6eb680, v105 :: v_dual_add_f32 v86, v165, v136
	s_delay_alu instid0(VALU_DEP_4) | instskip(NEXT) | instid1(VALU_DEP_3)
	v_dual_mul_f32 v164, 0xbeb8f4ab, v106 :: v_dual_add_f32 v85, v133, v85
	v_dual_mul_f32 v158, 0x3dbcf732, v109 :: v_dual_sub_f32 v133, v141, v170
	s_delay_alu instid0(VALU_DEP_3) | instskip(SKIP_1) | instid1(VALU_DEP_3)
	v_dual_add_f32 v82, v86, v82 :: v_dual_mul_f32 v169, 0xbf1a4643, v107
	v_mul_f32_e32 v167, 0xbf59a7d5, v107
	v_dual_mul_f32 v166, 0xbe3c28d5, v114 :: v_dual_add_f32 v85, v133, v85
	v_dual_sub_f32 v133, v145, v173 :: v_dual_mul_f32 v174, 0xbf2c7751, v112
	s_delay_alu instid0(VALU_DEP_4) | instskip(SKIP_1) | instid1(VALU_DEP_3)
	v_dual_add_f32 v86, v169, v137 :: v_dual_mul_f32 v141, 0x3f2c7751, v114
	v_sub_f32_e32 v83, v83, v160
	v_dual_add_f32 v85, v133, v85 :: v_dual_mul_f32 v176, 0xbe3c28d5, v112
	v_mul_f32_e32 v172, 0x3f6eb680, v109
	s_delay_alu instid0(VALU_DEP_4) | instskip(SKIP_1) | instid1(VALU_DEP_4)
	v_add_f32_e32 v82, v86, v82
	v_dual_mul_f32 v171, 0x3f7ee86f, v110 :: v_dual_sub_f32 v88, v88, v164
	v_sub_f32_e32 v133, v151, v176
	s_delay_alu instid0(VALU_DEP_4) | instskip(SKIP_2) | instid1(VALU_DEP_4)
	v_dual_mul_f32 v157, 0x3ee437d1, v115 :: v_dual_add_f32 v86, v172, v142
	v_mul_f32_e32 v145, 0x3f65296c, v116
	v_add_f32_e32 v81, v159, v81
	v_add_f32_e32 v85, v133, v85
	v_mul_f32_e32 v172, 0xbf65296c, v117
	v_add_f32_e32 v82, v86, v82
	v_add_f32_e32 v86, v175, v147
	v_dual_add_f32 v35, v72, v35 :: v_dual_add_f32 v34, v71, v34
	v_mul_f32_e32 v155, 0x3ee437d1, v130
	s_delay_alu instid0(VALU_DEP_3) | instskip(NEXT) | instid1(VALU_DEP_3)
	v_dual_mul_f32 v147, 0x3dbcf732, v120 :: v_dual_add_f32 v82, v86, v82
	v_dual_add_f32 v86, v177, v150 :: v_dual_add_f32 v83, v83, v35
	v_add_f32_e32 v84, v163, v84
	v_mul_f32_e32 v150, 0x3f7ee86f, v125
	v_dual_mul_f32 v165, 0xbf1a4643, v122 :: v_dual_mul_f32 v184, 0xbf1a4643, v124
	s_delay_alu instid0(VALU_DEP_4)
	v_add_f32_e32 v82, v86, v82
	v_add_f32_e32 v86, v161, v153
	v_dual_mul_f32 v136, 0xbf763a35, v116 :: v_dual_sub_f32 v133, v152, v141
	v_add_f32_e32 v83, v88, v83
	v_mul_f32_e32 v141, 0x3dbcf732, v128
	v_fmamk_f32 v88, v110, 0x3f65296c, v155
	v_mul_f32_e32 v153, 0x3f6eb680, v126
	v_add_f32_e32 v85, v133, v85
	v_sub_f32_e32 v133, v154, v136
	v_dual_mul_f32 v136, 0xbe8c1d8e, v120 :: v_dual_add_f32 v81, v81, v34
	v_add_f32_e32 v34, v86, v82
	s_delay_alu instid0(VALU_DEP_3) | instskip(SKIP_1) | instid1(VALU_DEP_4)
	v_dual_add_f32 v82, v167, v87 :: v_dual_add_f32 v35, v133, v85
	v_dual_sub_f32 v85, v134, v168 :: v_dual_sub_f32 v86, v149, v145
	v_dual_add_f32 v81, v84, v81 :: v_dual_sub_f32 v84, v146, v166
	v_dual_add_f32 v87, v138, v144 :: v_dual_mul_f32 v144, 0x3f2c7751, v119
	s_delay_alu instid0(VALU_DEP_3) | instskip(SKIP_1) | instid1(VALU_DEP_4)
	v_add_f32_e32 v83, v85, v83
	v_sub_f32_e32 v85, v139, v171
	v_dual_add_f32 v81, v82, v81 :: v_dual_mul_f32 v138, 0xbf7ba420, v130
	v_add_f32_e32 v82, v158, v135
	v_mul_f32_e32 v146, 0xbf65296c, v121
	v_mul_f32_e32 v139, 0x3ee437d1, v126
	;; [unrolled: 1-line block ×4, first 2 shown]
	v_add_f32_e32 v81, v82, v81
	v_dual_add_f32 v82, v162, v140 :: v_dual_add_f32 v83, v85, v83
	v_sub_f32_e32 v85, v143, v174
	v_mul_f32_e32 v135, 0x3f3d2fb0, v124
	v_mul_f32_e32 v140, 0xbf763a35, v117
	s_delay_alu instid0(VALU_DEP_4)
	v_add_f32_e32 v81, v82, v81
	v_mul_f32_e32 v145, 0xbf1a4643, v132
	v_add_f32_e32 v83, v85, v83
	v_fmamk_f32 v85, v102, 0x3f763a35, v136
	v_mul_f32_e32 v162, 0x3eb8f4ab, v121
	v_mul_f32_e32 v143, 0x3f6eb680, v131
	v_add_f32_e32 v81, v87, v81
	v_add_f32_e32 v83, v84, v83
	;; [unrolled: 1-line block ×3, first 2 shown]
	v_mul_f32_e32 v152, 0xbeb8f4ab, v127
	v_mul_f32_e32 v174, 0xbf4c4adb, v118
	v_mul_f32_e32 v159, 0xbf1a4643, v131
	v_add_f32_e32 v82, v86, v83
	v_fmamk_f32 v86, v103, 0xbf59a7d5, v142
	v_fmamk_f32 v85, v104, 0xbf06c442, v137
	v_mul_f32_e32 v158, 0xbe3c28d5, v118
	v_fmamk_f32 v134, v103, 0xbf1a4643, v174
	v_mul_f32_e32 v149, 0xbf7ba420, v122
	v_mul_f32_e32 v176, 0x3e3c28d5, v119
	v_dual_add_f32 v84, v85, v84 :: v_dual_fmamk_f32 v85, v106, 0xbf2c7751, v135
	v_dual_fmamk_f32 v133, v104, 0x3f4c4adb, v165 :: v_dual_mul_f32 v168, 0x3f4c4adb, v127
	v_mul_f32_e32 v160, 0x3f763a35, v119
	v_fmamk_f32 v87, v104, 0x3e3c28d5, v149
	s_delay_alu instid0(VALU_DEP_4) | instskip(SKIP_4) | instid1(VALU_DEP_4)
	v_add_f32_e32 v83, v85, v84
	v_dual_add_f32 v85, v157, v148 :: v_dual_mul_f32 v148, 0xbe3c28d5, v123
	v_mul_f32_e32 v164, 0xbf65296c, v123
	v_mul_f32_e32 v151, 0xbe8c1d8e, v124
	;; [unrolled: 1-line block ×3, first 2 shown]
	v_add_f32_e32 v81, v85, v81
	v_fmamk_f32 v85, v101, 0xbe8c1d8e, v140
	v_mul_f32_e32 v154, 0xbf4c4adb, v129
	v_mul_f32_e32 v170, 0x3f2c7751, v129
	v_dual_mul_f32 v177, 0xbf59a7d5, v132 :: v_dual_mul_f32 v188, 0xbf59a7d5, v130
	s_delay_alu instid0(VALU_DEP_4)
	v_add_f32_e32 v85, v71, v85
	v_mul_f32_e32 v187, 0xbf06c442, v129
	v_mul_f32_e32 v181, 0x3f2c7751, v123
	v_mul_f32_e32 v161, 0x3f3d2fb0, v132
	v_fmamk_f32 v190, v110, 0xbf06c442, v188
	v_dual_add_f32 v85, v86, v85 :: v_dual_fmamk_f32 v86, v105, 0x3f3d2fb0, v144
	v_mul_f32_e32 v163, 0x3ee437d1, v120
	v_dual_mul_f32 v167, 0xbf7ba420, v124 :: v_dual_mul_f32 v186, 0xbf7ba420, v126
	v_dual_mul_f32 v169, 0xbe8c1d8e, v126 :: v_dual_add_f32 v52, v52, v71
	s_delay_alu instid0(VALU_DEP_4) | instskip(SKIP_3) | instid1(VALU_DEP_4)
	v_dual_add_f32 v85, v86, v85 :: v_dual_fmamk_f32 v86, v107, 0x3ee437d1, v146
	v_fmamk_f32 v84, v108, 0x3f65296c, v139
	v_dual_mul_f32 v185, 0xbf7ee86f, v127 :: v_dual_mul_f32 v156, 0xbf7ee86f, v117
	v_add_f32_e32 v53, v53, v72
	v_add_f32_e32 v85, v86, v85
	s_delay_alu instid0(VALU_DEP_4) | instskip(SKIP_3) | instid1(VALU_DEP_4)
	v_dual_add_f32 v83, v84, v83 :: v_dual_fmamk_f32 v86, v109, 0xbf7ba420, v148
	v_fmamk_f32 v84, v110, 0x3e3c28d5, v138
	v_mul_f32_e32 v166, 0xbf06c442, v125
	v_dual_mul_f32 v171, 0x3f3d2fb0, v130 :: v_dual_add_f32 v52, v54, v52
	v_add_f32_e32 v85, v86, v85
	s_delay_alu instid0(VALU_DEP_4) | instskip(SKIP_3) | instid1(VALU_DEP_4)
	v_dual_add_f32 v83, v84, v83 :: v_dual_fmamk_f32 v86, v111, 0x3dbcf732, v150
	v_fmamk_f32 v84, v112, 0xbf7ee86f, v141
	v_mul_f32_e32 v182, 0x3dbcf732, v122
	v_dual_mul_f32 v54, 0xbf59a7d5, v131 :: v_dual_add_f32 v53, v55, v53
	v_dual_add_f32 v85, v86, v85 :: v_dual_fmamk_f32 v86, v113, 0x3f6eb680, v152
	s_delay_alu instid0(VALU_DEP_4) | instskip(SKIP_2) | instid1(VALU_DEP_4)
	v_dual_add_f32 v83, v84, v83 :: v_dual_fmamk_f32 v84, v114, 0x3eb8f4ab, v143
	v_mul_f32_e32 v194, 0xbf4c4adb, v119
	v_mul_f32_e32 v197, 0x3f06c442, v123
	v_dual_add_f32 v85, v86, v85 :: v_dual_fmamk_f32 v86, v115, 0xbf1a4643, v154
	s_delay_alu instid0(VALU_DEP_4) | instskip(SKIP_3) | instid1(VALU_DEP_3)
	v_add_f32_e32 v83, v84, v83
	v_fmamk_f32 v84, v116, 0x3f4c4adb, v145
	v_dual_mul_f32 v175, 0x3dbcf732, v131 :: v_dual_mul_f32 v126, 0x3dbcf732, v126
	v_mul_f32_e32 v191, 0xbe8c1d8e, v128
	v_dual_mul_f32 v195, 0x3f6eb680, v132 :: v_dual_add_f32 v84, v84, v83
	v_fmamk_f32 v83, v102, 0x3f7ee86f, v147
	v_fmac_f32_e32 v135, 0x3f2c7751, v106
	v_fmac_f32_e32 v139, 0xbf65296c, v108
	;; [unrolled: 1-line block ×4, first 2 shown]
	v_dual_add_f32 v83, v72, v83 :: v_dual_mul_f32 v178, 0x3f763a35, v121
	v_mul_f32_e32 v196, 0xbe3c28d5, v121
	v_add_f32_e32 v48, v48, v52
	s_delay_alu instid0(VALU_DEP_3) | instskip(SKIP_4) | instid1(VALU_DEP_4)
	v_dual_fmamk_f32 v52, v114, 0x3f06c442, v54 :: v_dual_add_f32 v83, v87, v83
	v_fmamk_f32 v87, v106, 0xbf763a35, v151
	v_fmamk_f32 v180, v107, 0xbe8c1d8e, v178
	v_mul_f32_e32 v173, 0x3f6eb680, v128
	v_add_f32_e32 v48, v50, v48
	v_dual_mul_f32 v192, 0xbf7ee86f, v118 :: v_dual_add_f32 v83, v87, v83
	v_fmamk_f32 v87, v108, 0xbeb8f4ab, v153
	v_mul_f32_e32 v122, 0x3f3d2fb0, v122
	s_delay_alu instid0(VALU_DEP_4) | instskip(SKIP_1) | instid1(VALU_DEP_4)
	v_add_f32_e32 v40, v40, v48
	v_mul_f32_e32 v198, 0x3f763a35, v125
	v_dual_fmac_f32 v54, 0xbf06c442, v114 :: v_dual_add_f32 v87, v87, v83
	v_add_f32_e32 v83, v86, v85
	s_delay_alu instid0(VALU_DEP_4) | instskip(SKIP_2) | instid1(VALU_DEP_3)
	v_dual_fmamk_f32 v85, v101, 0x3dbcf732, v156 :: v_dual_add_f32 v40, v42, v40
	v_fmamk_f32 v199, v104, 0x3f2c7751, v122
	v_fmac_f32_e32 v145, 0xbf4c4adb, v116
	v_dual_mul_f32 v124, 0x3ee437d1, v124 :: v_dual_add_f32 v85, v71, v85
	v_add_f32_e32 v86, v88, v87
	v_fmamk_f32 v87, v112, 0x3f06c442, v157
	v_fmamk_f32 v88, v103, 0xbf7ba420, v158
	v_add_f32_e32 v40, v44, v40
	v_fmamk_f32 v183, v104, 0x3f7ee86f, v182
	v_mul_f32_e32 v130, 0xbe8c1d8e, v130
	v_dual_add_f32 v86, v87, v86 :: v_dual_fmamk_f32 v87, v114, 0xbf4c4adb, v159
	v_dual_add_f32 v85, v88, v85 :: v_dual_fmamk_f32 v88, v105, 0xbe8c1d8e, v160
	v_fmac_f32_e32 v159, 0x3f4c4adb, v114
	s_delay_alu instid0(VALU_DEP_3) | instskip(SKIP_1) | instid1(VALU_DEP_4)
	v_dual_add_f32 v49, v49, v53 :: v_dual_add_f32 v86, v87, v86
	v_fmamk_f32 v87, v116, 0xbf2c7751, v161
	v_dual_add_f32 v85, v88, v85 :: v_dual_add_f32 v40, v46, v40
	s_delay_alu instid0(VALU_DEP_3) | instskip(SKIP_1) | instid1(VALU_DEP_4)
	v_add_f32_e32 v49, v51, v49
	v_fmac_f32_e32 v151, 0x3f763a35, v106
	v_dual_add_f32 v86, v87, v86 :: v_dual_fmamk_f32 v87, v102, 0x3f65296c, v163
	v_fmac_f32_e32 v147, 0xbf7ee86f, v102
	s_delay_alu instid0(VALU_DEP_4) | instskip(SKIP_1) | instid1(VALU_DEP_4)
	v_dual_add_f32 v41, v41, v49 :: v_dual_mul_f32 v200, 0x3f65296c, v127
	v_add_f32_e32 v36, v36, v40
	v_dual_add_f32 v87, v72, v87 :: v_dual_fmamk_f32 v88, v107, 0x3f6eb680, v162
	v_mul_f32_e32 v48, 0xbf65296c, v119
	v_fmac_f32_e32 v136, 0xbf763a35, v102
	s_delay_alu instid0(VALU_DEP_3) | instskip(NEXT) | instid1(VALU_DEP_4)
	v_dual_add_f32 v36, v38, v36 :: v_dual_add_f32 v87, v133, v87
	v_dual_add_f32 v85, v88, v85 :: v_dual_fmamk_f32 v88, v109, 0x3ee437d1, v164
	v_fmamk_f32 v133, v106, 0xbe3c28d5, v167
	v_fmac_f32_e32 v167, 0x3e3c28d5, v106
	v_mul_f32_e32 v49, 0xbf2c7751, v118
	v_dual_mul_f32 v189, 0xbf2c7751, v117 :: v_dual_add_f32 v38, v72, v136
	v_dual_add_f32 v85, v88, v85 :: v_dual_fmamk_f32 v88, v111, 0xbf59a7d5, v166
	v_add_f32_e32 v87, v133, v87
	v_fmamk_f32 v133, v108, 0xbf763a35, v169
	v_fmac_f32_e32 v169, 0x3f763a35, v108
	v_add_f32_e32 v41, v43, v41
	v_dual_add_f32 v85, v88, v85 :: v_dual_fmamk_f32 v88, v113, 0xbf1a4643, v168
	s_delay_alu instid0(VALU_DEP_4) | instskip(SKIP_4) | instid1(VALU_DEP_4)
	v_add_f32_e32 v87, v133, v87
	v_fmamk_f32 v133, v110, 0xbf2c7751, v171
	v_fmamk_f32 v43, v103, 0x3f3d2fb0, v49
	v_mul_f32_e32 v179, 0x3f3d2fb0, v120
	v_dual_add_f32 v85, v88, v85 :: v_dual_fmamk_f32 v88, v115, 0x3f3d2fb0, v170
	v_add_f32_e32 v87, v133, v87
	v_fmamk_f32 v133, v112, 0x3eb8f4ab, v173
	v_dual_add_f32 v41, v45, v41 :: v_dual_fmac_f32 v188, 0x3f06c442, v110
	s_delay_alu instid0(VALU_DEP_4) | instskip(SKIP_1) | instid1(VALU_DEP_4)
	v_dual_add_f32 v85, v88, v85 :: v_dual_mul_f32 v120, 0x3f6eb680, v120
	v_fmamk_f32 v88, v101, 0x3ee437d1, v172
	v_add_f32_e32 v87, v133, v87
	v_fmamk_f32 v133, v114, 0x3f7ee86f, v175
	v_add_f32_e32 v41, v47, v41
	v_fmac_f32_e32 v137, 0x3f06c442, v104
	v_dual_add_f32 v88, v71, v88 :: v_dual_fmac_f32 v175, 0xbf7ee86f, v114
	s_delay_alu instid0(VALU_DEP_4) | instskip(SKIP_2) | instid1(VALU_DEP_4)
	v_add_f32_e32 v87, v133, v87
	v_fmamk_f32 v133, v116, 0x3f06c442, v177
	v_add_f32_e32 v32, v32, v36
	v_add_f32_e32 v88, v134, v88
	v_fmamk_f32 v134, v105, 0xbf7ba420, v176
	v_add_f32_e32 v36, v137, v38
	v_fmac_f32_e32 v155, 0xbf65296c, v110
	v_mul_f32_e32 v55, 0xbf1a4643, v128
	s_delay_alu instid0(VALU_DEP_4) | instskip(SKIP_3) | instid1(VALU_DEP_4)
	v_dual_mul_f32 v117, 0xbeb8f4ab, v117 :: v_dual_add_f32 v134, v134, v88
	v_dual_add_f32 v88, v133, v87 :: v_dual_fmamk_f32 v87, v102, 0x3f2c7751, v179
	v_add_f32_e32 v36, v135, v36
	v_fmac_f32_e32 v153, 0x3eb8f4ab, v108
	v_dual_add_f32 v133, v180, v134 :: v_dual_fmamk_f32 v134, v109, 0x3f3d2fb0, v181
	s_delay_alu instid0(VALU_DEP_4) | instskip(NEXT) | instid1(VALU_DEP_4)
	v_dual_mul_f32 v180, 0xbeb8f4ab, v125 :: v_dual_add_f32 v87, v72, v87
	v_add_f32_e32 v36, v139, v36
	v_fmac_f32_e32 v157, 0xbf06c442, v112
	s_delay_alu instid0(VALU_DEP_3) | instskip(NEXT) | instid1(VALU_DEP_4)
	v_dual_add_f32 v133, v134, v133 :: v_dual_fmamk_f32 v134, v111, 0x3f6eb680, v180
	v_add_f32_e32 v87, v183, v87
	v_fmamk_f32 v183, v106, 0x3f4c4adb, v184
	v_dual_fmac_f32 v184, 0xbf4c4adb, v106 :: v_dual_add_f32 v41, v37, v41
	s_delay_alu instid0(VALU_DEP_4) | instskip(NEXT) | instid1(VALU_DEP_3)
	v_dual_add_f32 v133, v134, v133 :: v_dual_fmamk_f32 v134, v113, 0x3dbcf732, v185
	v_add_f32_e32 v87, v183, v87
	v_fmamk_f32 v183, v108, 0x3e3c28d5, v186
	s_delay_alu instid0(VALU_DEP_4) | instskip(NEXT) | instid1(VALU_DEP_4)
	v_dual_fmac_f32 v186, 0xbe3c28d5, v108 :: v_dual_add_f32 v39, v39, v41
	v_dual_add_f32 v133, v134, v133 :: v_dual_fmamk_f32 v134, v115, 0xbf59a7d5, v187
	s_delay_alu instid0(VALU_DEP_3) | instskip(SKIP_1) | instid1(VALU_DEP_4)
	v_add_f32_e32 v183, v183, v87
	v_mul_f32_e32 v41, 0xbf4c4adb, v125
	v_add_f32_e32 v33, v33, v39
	v_fmamk_f32 v53, v112, 0x3f4c4adb, v55
	v_add_f32_e32 v87, v134, v133
	v_dual_add_f32 v134, v190, v183 :: v_dual_fmamk_f32 v183, v112, 0xbf763a35, v191
	v_mul_f32_e32 v190, 0x3ee437d1, v131
	v_fmamk_f32 v133, v101, 0x3f3d2fb0, v189
	v_dual_mul_f32 v45, 0xbf7ee86f, v121 :: v_dual_fmac_f32 v182, 0xbf7ee86f, v104
	s_delay_alu instid0(VALU_DEP_3) | instskip(SKIP_3) | instid1(VALU_DEP_4)
	v_dual_add_f32 v134, v183, v134 :: v_dual_fmamk_f32 v183, v114, 0xbf65296c, v190
	v_fmac_f32_e32 v171, 0x3f2c7751, v110
	v_dual_fmamk_f32 v193, v103, 0x3dbcf732, v192 :: v_dual_add_f32 v32, v61, v32
	v_fmac_f32_e32 v122, 0xbf2c7751, v104
	v_dual_add_f32 v134, v183, v134 :: v_dual_fmamk_f32 v183, v116, 0xbeb8f4ab, v195
	v_fmac_f32_e32 v190, 0x3f65296c, v114
	s_delay_alu instid0(VALU_DEP_4) | instskip(NEXT) | instid1(VALU_DEP_3)
	v_dual_fmac_f32 v163, 0xbf65296c, v102 :: v_dual_add_f32 v32, v59, v32
	v_dual_fmac_f32 v161, 0x3f2c7751, v116 :: v_dual_add_f32 v134, v183, v134
	v_fmamk_f32 v183, v102, 0x3eb8f4ab, v120
	v_fmac_f32_e32 v120, 0xbeb8f4ab, v102
	v_fmac_f32_e32 v138, 0xbe3c28d5, v110
	v_add_f32_e32 v32, v57, v32
	v_fma_f32 v47, 0xbf1a4643, v103, -v174
	v_add_f32_e32 v183, v72, v183
	v_fmac_f32_e32 v177, 0xbf06c442, v116
	s_delay_alu instid0(VALU_DEP_2) | instskip(SKIP_2) | instid1(VALU_DEP_2)
	v_dual_add_f32 v0, v0, v32 :: v_dual_add_f32 v183, v199, v183
	v_fmamk_f32 v199, v106, 0x3f65296c, v124
	v_fmac_f32_e32 v124, 0xbf65296c, v106
	v_dual_add_f32 v0, v2, v0 :: v_dual_add_f32 v183, v199, v183
	v_fmamk_f32 v199, v108, 0x3f7ee86f, v126
	s_delay_alu instid0(VALU_DEP_1) | instskip(SKIP_2) | instid1(VALU_DEP_2)
	v_dual_fmac_f32 v126, 0xbf7ee86f, v108 :: v_dual_add_f32 v183, v199, v183
	v_fmamk_f32 v199, v110, 0x3f763a35, v130
	v_fmac_f32_e32 v130, 0xbf763a35, v110
	v_dual_fmac_f32 v143, 0xbeb8f4ab, v114 :: v_dual_add_f32 v128, v199, v183
	s_delay_alu instid0(VALU_DEP_1) | instskip(NEXT) | instid1(VALU_DEP_1)
	v_add_f32_e32 v51, v53, v128
	v_dual_fmamk_f32 v53, v101, 0x3f6eb680, v117 :: v_dual_add_f32 v50, v52, v51
	s_delay_alu instid0(VALU_DEP_1) | instskip(NEXT) | instid1(VALU_DEP_1)
	v_dual_add_f32 v51, v71, v53 :: v_dual_mul_f32 v52, 0xbf7ba420, v132
	v_dual_fmac_f32 v173, 0xbeb8f4ab, v112 :: v_dual_add_f32 v42, v43, v51
	v_fmamk_f32 v43, v105, 0x3ee437d1, v48
	s_delay_alu instid0(VALU_DEP_3)
	v_fmamk_f32 v44, v116, 0x3e3c28d5, v52
	v_fma_f32 v48, 0x3ee437d1, v105, -v48
	v_fmac_f32_e32 v52, 0xbe3c28d5, v116
	v_fmac_f32_e32 v179, 0xbf2c7751, v102
	v_add_f32_e32 v42, v43, v42
	v_fmamk_f32 v43, v107, 0x3dbcf732, v45
	v_dual_add_f32 v37, v44, v50 :: v_dual_mul_f32 v44, 0xbf763a35, v123
	v_fma_f32 v51, 0x3dbcf732, v103, -v192
	s_delay_alu instid0(VALU_DEP_3) | instskip(SKIP_1) | instid1(VALU_DEP_4)
	v_add_f32_e32 v42, v43, v42
	v_fma_f32 v43, 0xbf59a7d5, v111, -v166
	v_fmamk_f32 v40, v109, 0xbe8c1d8e, v44
	v_fmac_f32_e32 v191, 0x3f763a35, v112
	v_add_f32_e32 v33, v62, v33
	v_fma_f32 v44, 0xbe8c1d8e, v109, -v44
	s_delay_alu instid0(VALU_DEP_4) | instskip(SKIP_1) | instid1(VALU_DEP_4)
	v_dual_add_f32 v39, v40, v42 :: v_dual_fmamk_f32 v40, v111, 0xbf1a4643, v41
	v_add_f32_e32 v133, v71, v133
	v_add_f32_e32 v33, v60, v33
	v_mul_f32_e32 v42, 0xbe3c28d5, v129
	s_delay_alu instid0(VALU_DEP_3) | instskip(SKIP_3) | instid1(VALU_DEP_3)
	v_dual_add_f32 v38, v40, v39 :: v_dual_add_f32 v133, v193, v133
	v_mul_f32_e32 v40, 0xbf06c442, v127
	v_fmamk_f32 v193, v105, 0xbf1a4643, v194
	v_add_f32_e32 v33, v58, v33
	v_fmamk_f32 v39, v113, 0xbf59a7d5, v40
	s_delay_alu instid0(VALU_DEP_3) | instskip(SKIP_1) | instid1(VALU_DEP_4)
	v_add_f32_e32 v133, v193, v133
	v_fmamk_f32 v193, v107, 0xbf7ba420, v196
	v_add_f32_e32 v1, v1, v33
	s_delay_alu instid0(VALU_DEP_4) | instskip(SKIP_1) | instid1(VALU_DEP_4)
	v_dual_add_f32 v33, v138, v36 :: v_dual_add_f32 v38, v39, v38
	v_fmamk_f32 v39, v115, 0xbf7ba420, v42
	v_add_f32_e32 v133, v193, v133
	s_delay_alu instid0(VALU_DEP_4) | instskip(NEXT) | instid1(VALU_DEP_4)
	v_add_f32_e32 v1, v3, v1
	v_add_f32_e32 v3, v141, v33
	v_fma_f32 v33, 0xbf59a7d5, v103, -v142
	v_add_f32_e32 v36, v39, v38
	v_fma_f32 v38, 0xbe8c1d8e, v101, -v140
	s_delay_alu instid0(VALU_DEP_4) | instskip(SKIP_1) | instid1(VALU_DEP_3)
	v_dual_fmamk_f32 v193, v109, 0xbf59a7d5, v197 :: v_dual_add_f32 v2, v143, v3
	v_fma_f32 v40, 0xbf59a7d5, v113, -v40
	v_dual_fmac_f32 v149, 0xbe3c28d5, v104 :: v_dual_add_f32 v32, v71, v38
	s_delay_alu instid0(VALU_DEP_3) | instskip(SKIP_1) | instid1(VALU_DEP_3)
	v_add_f32_e32 v133, v193, v133
	v_dual_fmamk_f32 v193, v111, 0xbe8c1d8e, v198 :: v_dual_add_f32 v38, v72, v147
	v_dual_mul_f32 v201, 0x3eb8f4ab, v129 :: v_dual_add_f32 v32, v33, v32
	v_fma_f32 v33, 0x3f3d2fb0, v105, -v144
	v_add_f32_e32 v3, v145, v2
	v_fma_f32 v2, 0x3dbcf732, v101, -v156
	v_add_f32_e32 v38, v149, v38
	v_add_f32_e32 v133, v193, v133
	;; [unrolled: 1-line block ×3, first 2 shown]
	v_fma_f32 v33, 0x3ee437d1, v107, -v146
	v_dual_add_f32 v2, v71, v2 :: v_dual_fmamk_f32 v193, v113, 0x3ee437d1, v200
	v_add_f32_e32 v38, v151, v38
	v_fma_f32 v39, 0xbf7ba420, v103, -v158
	s_delay_alu instid0(VALU_DEP_4) | instskip(SKIP_1) | instid1(VALU_DEP_4)
	v_add_f32_e32 v32, v33, v32
	v_fma_f32 v33, 0xbf7ba420, v109, -v148
	v_dual_fmac_f32 v195, 0x3eb8f4ab, v116 :: v_dual_add_f32 v38, v153, v38
	s_delay_alu instid0(VALU_DEP_4) | instskip(SKIP_4) | instid1(VALU_DEP_4)
	v_add_f32_e32 v2, v39, v2
	v_fma_f32 v39, 0xbe8c1d8e, v105, -v160
	v_add_f32_e32 v133, v193, v133
	v_dual_fmamk_f32 v193, v115, 0x3f6eb680, v201 :: v_dual_add_f32 v32, v33, v32
	v_fma_f32 v33, 0x3dbcf732, v111, -v150
	v_add_f32_e32 v2, v39, v2
	v_fma_f32 v39, 0x3f6eb680, v107, -v162
	s_delay_alu instid0(VALU_DEP_4) | instskip(NEXT) | instid1(VALU_DEP_4)
	v_dual_add_f32 v38, v155, v38 :: v_dual_add_f32 v133, v193, v133
	v_add_f32_e32 v32, v33, v32
	v_fma_f32 v33, 0x3f6eb680, v113, -v152
	s_delay_alu instid0(VALU_DEP_4) | instskip(SKIP_2) | instid1(VALU_DEP_4)
	v_add_f32_e32 v2, v39, v2
	v_fma_f32 v39, 0x3ee437d1, v109, -v164
	v_dual_add_f32 v38, v157, v38 :: v_dual_fmac_f32 v55, 0xbf4c4adb, v112
	v_add_f32_e32 v32, v33, v32
	v_fma_f32 v33, 0xbf1a4643, v115, -v154
	s_delay_alu instid0(VALU_DEP_4) | instskip(SKIP_1) | instid1(VALU_DEP_3)
	v_add_f32_e32 v39, v39, v2
	v_fma_f32 v42, 0xbf7ba420, v115, -v42
	v_add_f32_e32 v2, v33, v32
	v_add_f32_e32 v32, v159, v38
	s_delay_alu instid0(VALU_DEP_4) | instskip(SKIP_2) | instid1(VALU_DEP_4)
	v_add_f32_e32 v38, v43, v39
	v_fma_f32 v39, 0xbf1a4643, v113, -v168
	v_add_f32_e32 v43, v72, v163
	v_add_f32_e32 v33, v161, v32
	v_fma_f32 v32, 0x3ee437d1, v101, -v172
	s_delay_alu instid0(VALU_DEP_4) | instskip(SKIP_1) | instid1(VALU_DEP_3)
	v_add_f32_e32 v38, v39, v38
	v_fma_f32 v39, 0x3f3d2fb0, v115, -v170
	v_dual_add_f32 v43, v165, v43 :: v_dual_add_f32 v46, v71, v32
	s_delay_alu instid0(VALU_DEP_2) | instskip(NEXT) | instid1(VALU_DEP_2)
	v_add_f32_e32 v32, v39, v38
	v_add_f32_e32 v38, v167, v43
	v_fma_f32 v43, 0xbf7ba420, v105, -v176
	s_delay_alu instid0(VALU_DEP_4) | instskip(SKIP_1) | instid1(VALU_DEP_4)
	v_dual_add_f32 v39, v47, v46 :: v_dual_add_f32 v46, v72, v179
	v_fma_f32 v47, 0x3dbcf732, v113, -v185
	v_add_f32_e32 v38, v169, v38
	v_fma_f32 v49, 0x3f3d2fb0, v103, -v49
	s_delay_alu instid0(VALU_DEP_4) | instskip(SKIP_3) | instid1(VALU_DEP_3)
	v_add_f32_e32 v39, v43, v39
	v_fma_f32 v43, 0xbe8c1d8e, v107, -v178
	v_add_f32_e32 v46, v182, v46
	v_add_f32_e32 v38, v171, v38
	;; [unrolled: 1-line block ×3, first 2 shown]
	v_fma_f32 v43, 0x3f3d2fb0, v109, -v181
	s_delay_alu instid0(VALU_DEP_4) | instskip(NEXT) | instid1(VALU_DEP_4)
	v_add_f32_e32 v46, v184, v46
	v_add_f32_e32 v38, v173, v38
	v_fma_f32 v45, 0x3dbcf732, v107, -v45
	s_delay_alu instid0(VALU_DEP_4) | instskip(SKIP_4) | instid1(VALU_DEP_3)
	v_add_f32_e32 v39, v43, v39
	v_fma_f32 v43, 0x3f6eb680, v111, -v180
	v_add_f32_e32 v46, v186, v46
	v_add_f32_e32 v38, v175, v38
	v_fma_f32 v41, 0xbf1a4643, v111, -v41
	v_dual_add_f32 v43, v43, v39 :: v_dual_add_f32 v46, v188, v46
	s_delay_alu instid0(VALU_DEP_3) | instskip(SKIP_1) | instid1(VALU_DEP_3)
	v_add_f32_e32 v39, v177, v38
	v_fma_f32 v38, 0x3f3d2fb0, v101, -v189
	v_add_f32_e32 v43, v47, v43
	v_fma_f32 v47, 0xbf59a7d5, v115, -v187
	v_add_f32_e32 v46, v191, v46
	s_delay_alu instid0(VALU_DEP_4) | instskip(NEXT) | instid1(VALU_DEP_2)
	v_add_f32_e32 v50, v71, v38
	v_dual_add_f32 v38, v47, v43 :: v_dual_add_f32 v43, v190, v46
	v_fma_f32 v46, 0x3f6eb680, v101, -v117
	s_delay_alu instid0(VALU_DEP_3) | instskip(SKIP_1) | instid1(VALU_DEP_3)
	v_add_f32_e32 v47, v51, v50
	v_fma_f32 v50, 0xbf1a4643, v105, -v194
	v_dual_add_f32 v51, v72, v120 :: v_dual_add_f32 v46, v71, v46
	s_delay_alu instid0(VALU_DEP_2) | instskip(SKIP_1) | instid1(VALU_DEP_3)
	v_add_f32_e32 v47, v50, v47
	v_fma_f32 v50, 0xbf7ba420, v107, -v196
	v_dual_add_f32 v51, v122, v51 :: v_dual_add_f32 v46, v49, v46
	v_fma_f32 v49, 0xbf59a7d5, v109, -v197
	s_delay_alu instid0(VALU_DEP_3) | instskip(NEXT) | instid1(VALU_DEP_3)
	v_add_f32_e32 v47, v50, v47
	v_add_f32_e32 v50, v124, v51
	s_delay_alu instid0(VALU_DEP_4) | instskip(SKIP_1) | instid1(VALU_DEP_4)
	v_add_f32_e32 v46, v48, v46
	v_fma_f32 v48, 0xbe8c1d8e, v111, -v198
	v_add_f32_e32 v47, v49, v47
	s_delay_alu instid0(VALU_DEP_4) | instskip(NEXT) | instid1(VALU_DEP_2)
	v_add_f32_e32 v49, v126, v50
	v_dual_add_f32 v45, v45, v46 :: v_dual_add_f32 v46, v48, v47
	v_fma_f32 v47, 0x3ee437d1, v113, -v200
	s_delay_alu instid0(VALU_DEP_3) | instskip(NEXT) | instid1(VALU_DEP_2)
	v_add_f32_e32 v48, v130, v49
	v_dual_add_f32 v44, v44, v45 :: v_dual_add_f32 v45, v47, v46
	s_delay_alu instid0(VALU_DEP_2) | instskip(NEXT) | instid1(VALU_DEP_2)
	v_add_f32_e32 v46, v55, v48
	v_add_f32_e32 v41, v41, v44
	v_and_b32_e32 v47, 0xffff, v94
	v_fma_f32 v44, 0x3f6eb680, v115, -v201
	s_delay_alu instid0(VALU_DEP_4) | instskip(NEXT) | instid1(VALU_DEP_4)
	v_add_f32_e32 v46, v54, v46
	v_add_f32_e32 v48, v40, v41
	s_delay_alu instid0(VALU_DEP_4) | instskip(NEXT) | instid1(VALU_DEP_4)
	v_lshl_add_u32 v47, v47, 3, v93
	v_dual_add_f32 v41, v195, v43 :: v_dual_add_f32 v40, v44, v45
	s_delay_alu instid0(VALU_DEP_3)
	v_dual_add_f32 v43, v52, v46 :: v_dual_add_f32 v42, v42, v48
	ds_store_2addr_b64 v47, v[0:1], v[36:37] offset1:1
	ds_store_2addr_b64 v47, v[133:134], v[87:88] offset0:2 offset1:3
	ds_store_2addr_b64 v47, v[85:86], v[83:84] offset0:4 offset1:5
	;; [unrolled: 1-line block ×7, first 2 shown]
	ds_store_b64 v47, v[42:43] offset:128
.LBB0_17:
	s_wait_alu 0xfffe
	s_or_b32 exec_lo, exec_lo, s1
	v_add_nc_u32_e32 v32, 0x800, v96
	v_add_nc_u32_e32 v33, 0xc00, v96
	global_wb scope:SCOPE_SE
	s_wait_dscnt 0x0
	s_barrier_signal -1
	s_barrier_wait -1
	global_inv scope:SCOPE_SE
	ds_load_2addr_b64 v[0:3], v96 offset1:68
	ds_load_2addr_b64 v[40:43], v96 offset0:170 offset1:238
	ds_load_2addr_b64 v[36:39], v32 offset0:84 offset1:152
	;; [unrolled: 1-line block ×3, first 2 shown]
	s_and_saveexec_b32 s1, s0
	s_cbranch_execz .LBB0_19
; %bb.18:
	ds_load_b64 v[75:76], v96 offset:1088
	ds_load_b64 v[79:80], v96 offset:2448
	ds_load_b64 v[77:78], v96 offset:3808
	ds_load_b64 v[73:74], v96 offset:5168
.LBB0_19:
	s_wait_alu 0xfffe
	s_or_b32 exec_lo, exec_lo, s1
	s_wait_dscnt 0x2
	v_mul_f32_e32 v44, v17, v41
	v_mul_f32_e32 v17, v17, v40
	s_wait_dscnt 0x1
	v_mul_f32_e32 v45, v19, v37
	v_mul_f32_e32 v19, v19, v36
	global_wb scope:SCOPE_SE
	s_wait_dscnt 0x0
	v_fmac_f32_e32 v44, v16, v40
	v_fma_f32 v16, v16, v41, -v17
	v_dual_fmac_f32 v45, v18, v36 :: v_dual_mul_f32 v36, v9, v43
	v_mul_f32_e32 v17, v68, v33
	v_fma_f32 v18, v18, v37, -v19
	v_mul_f32_e32 v19, v68, v32
	v_mul_f32_e32 v9, v9, v42
	s_delay_alu instid0(VALU_DEP_4) | instskip(SKIP_2) | instid1(VALU_DEP_3)
	v_dual_fmac_f32 v36, v8, v42 :: v_dual_fmac_f32 v17, v67, v32
	v_mul_f32_e32 v32, v11, v39
	s_barrier_signal -1
	v_fma_f32 v9, v8, v43, -v9
	v_mul_f32_e32 v8, v11, v38
	v_fma_f32 v19, v67, v33, -v19
	v_dual_sub_f32 v33, v0, v45 :: v_dual_fmac_f32 v32, v10, v38
	v_mul_f32_e32 v38, v66, v34
	s_delay_alu instid0(VALU_DEP_3) | instskip(SKIP_1) | instid1(VALU_DEP_4)
	v_dual_sub_f32 v37, v1, v18 :: v_dual_sub_f32 v18, v16, v19
	v_mul_f32_e32 v19, v66, v35
	v_fma_f32 v11, v0, 2.0, -v33
	v_sub_f32_e32 v17, v44, v17
	v_fma_f32 v10, v10, v39, -v8
	s_barrier_wait -1
	v_dual_fmac_f32 v19, v65, v34 :: v_dual_sub_f32 v34, v2, v32
	v_fma_f32 v40, v1, 2.0, -v37
	v_fma_f32 v1, v16, 2.0, -v18
	v_fma_f32 v16, v65, v35, -v38
	v_fma_f32 v0, v44, 2.0, -v17
	v_sub_f32_e32 v19, v36, v19
	v_fma_f32 v38, v2, 2.0, -v34
	s_delay_alu instid0(VALU_DEP_4)
	v_dual_sub_f32 v1, v40, v1 :: v_dual_sub_f32 v32, v9, v16
	v_sub_f32_e32 v35, v3, v10
	v_sub_f32_e32 v0, v11, v0
	v_add_f32_e32 v10, v33, v18
	global_inv scope:SCOPE_SE
	v_fma_f32 v18, v9, 2.0, -v32
	v_fma_f32 v39, v3, 2.0, -v35
	;; [unrolled: 1-line block ×4, first 2 shown]
	v_sub_f32_e32 v11, v37, v17
	v_fma_f32 v9, v40, 2.0, -v1
	v_dual_sub_f32 v17, v39, v18 :: v_dual_add_f32 v18, v34, v32
	v_sub_f32_e32 v16, v38, v3
	v_sub_f32_e32 v19, v35, v19
	v_fma_f32 v2, v33, 2.0, -v10
	v_fma_f32 v3, v37, 2.0, -v11
	v_fma_f32 v33, v39, 2.0, -v17
	v_fma_f32 v32, v38, 2.0, -v16
	v_fma_f32 v34, v34, 2.0, -v18
	v_fma_f32 v35, v35, 2.0, -v19
	ds_store_2addr_b64 v100, v[8:9], v[2:3] offset1:17
	ds_store_2addr_b64 v100, v[0:1], v[10:11] offset0:34 offset1:51
	ds_store_2addr_b64 v99, v[32:33], v[34:35] offset1:17
	ds_store_2addr_b64 v99, v[16:17], v[18:19] offset0:34 offset1:51
	s_and_saveexec_b32 s1, s0
	s_cbranch_execz .LBB0_21
; %bb.20:
	v_dual_mul_f32 v2, v7, v78 :: v_dual_mul_f32 v3, v5, v79
	v_dual_mul_f32 v0, v7, v77 :: v_dual_mul_f32 v1, v5, v80
	s_delay_alu instid0(VALU_DEP_2) | instskip(NEXT) | instid1(VALU_DEP_3)
	v_dual_mul_f32 v7, v64, v74 :: v_dual_fmac_f32 v2, v6, v77
	v_fma_f32 v3, v4, v80, -v3
	v_mul_f32_e32 v5, v64, v73
	s_delay_alu instid0(VALU_DEP_4) | instskip(SKIP_2) | instid1(VALU_DEP_4)
	v_fma_f32 v0, v6, v78, -v0
	v_fmac_f32_e32 v1, v4, v79
	v_mul_u32_u24_e32 v9, 0x44, v98
	v_fma_f32 v4, v63, v74, -v5
	s_delay_alu instid0(VALU_DEP_4) | instskip(NEXT) | instid1(VALU_DEP_2)
	v_sub_f32_e32 v5, v76, v0
	v_dual_sub_f32 v0, v3, v4 :: v_dual_add_nc_u32 v9, v9, v97
	v_sub_f32_e32 v4, v75, v2
	v_fmac_f32_e32 v7, v63, v73
	s_delay_alu instid0(VALU_DEP_3) | instskip(NEXT) | instid1(VALU_DEP_3)
	v_fma_f32 v3, v3, 2.0, -v0
	v_add_f32_e32 v0, v4, v0
	s_delay_alu instid0(VALU_DEP_3) | instskip(SKIP_2) | instid1(VALU_DEP_4)
	v_sub_f32_e32 v2, v1, v7
	v_fma_f32 v6, v76, 2.0, -v5
	v_fma_f32 v8, v75, 2.0, -v4
	;; [unrolled: 1-line block ×3, first 2 shown]
	s_delay_alu instid0(VALU_DEP_4) | instskip(SKIP_2) | instid1(VALU_DEP_3)
	v_fma_f32 v7, v1, 2.0, -v2
	v_sub_f32_e32 v1, v5, v2
	v_sub_f32_e32 v3, v6, v3
	;; [unrolled: 1-line block ×3, first 2 shown]
	s_delay_alu instid0(VALU_DEP_3) | instskip(NEXT) | instid1(VALU_DEP_3)
	v_fma_f32 v5, v5, 2.0, -v1
	v_fma_f32 v7, v6, 2.0, -v3
	s_delay_alu instid0(VALU_DEP_3)
	v_fma_f32 v6, v8, 2.0, -v2
	v_lshl_add_u32 v8, v9, 3, v93
	ds_store_2addr_b64 v8, v[6:7], v[4:5] offset1:17
	ds_store_2addr_b64 v8, v[2:3], v[0:1] offset0:34 offset1:51
.LBB0_21:
	s_wait_alu 0xfffe
	s_or_b32 exec_lo, exec_lo, s1
	global_wb scope:SCOPE_SE
	s_wait_dscnt 0x0
	s_barrier_signal -1
	s_barrier_wait -1
	global_inv scope:SCOPE_SE
	ds_load_2addr_b64 v[0:3], v96 offset1:68
	ds_load_2addr_b64 v[4:7], v96 offset0:136 offset1:204
	v_add_nc_u32_e32 v16, 0x800, v96
	v_add_nc_u32_e32 v32, 0x1000, v96
	s_wait_dscnt 0x1
	v_mul_f32_e32 v36, v29, v3
	v_mul_f32_e32 v29, v29, v2
	ds_load_2addr_b64 v[8:11], v16 offset0:16 offset1:220
	s_wait_dscnt 0x1
	v_mul_f32_e32 v37, v31, v5
	v_mul_f32_e32 v31, v31, v4
	ds_load_2addr_b64 v[16:19], v16 offset0:84 offset1:152
	ds_load_2addr_b64 v[32:35], v32 offset0:32 offset1:100
	v_mul_f32_e32 v38, v25, v7
	v_mul_f32_e32 v25, v25, v6
	v_fmac_f32_e32 v36, v28, v2
	v_fma_f32 v2, v28, v3, -v29
	v_fma_f32 v3, v30, v5, -v31
	v_dual_fmac_f32 v37, v30, v4 :: v_dual_fmac_f32 v38, v24, v6
	s_wait_dscnt 0x2
	v_mul_f32_e32 v5, v27, v9
	v_mul_f32_e32 v6, v27, v8
	v_fma_f32 v4, v24, v7, -v25
	s_wait_dscnt 0x1
	v_mul_f32_e32 v7, v21, v17
	v_dual_mul_f32 v21, v21, v16 :: v_dual_mul_f32 v24, v23, v19
	v_dual_fmac_f32 v5, v26, v8 :: v_dual_mul_f32 v8, v23, v18
	v_fma_f32 v6, v26, v9, -v6
	s_delay_alu instid0(VALU_DEP_3) | instskip(NEXT) | instid1(VALU_DEP_4)
	v_dual_fmac_f32 v7, v20, v16 :: v_dual_fmac_f32 v24, v22, v18
	v_fma_f32 v16, v20, v17, -v21
	s_wait_dscnt 0x0
	v_mul_f32_e32 v17, v15, v32
	v_fma_f32 v8, v22, v19, -v8
	v_mul_f32_e32 v9, v13, v11
	v_mul_f32_e32 v15, v15, v33
	v_dual_mul_f32 v23, v70, v34 :: v_dual_add_f32 v26, v1, v3
	v_fma_f32 v17, v14, v33, -v17
	v_mul_f32_e32 v18, v70, v35
	s_delay_alu instid0(VALU_DEP_4) | instskip(SKIP_3) | instid1(VALU_DEP_4)
	v_fmac_f32_e32 v15, v14, v32
	v_dual_sub_f32 v14, v6, v8 :: v_dual_fmac_f32 v9, v12, v10
	v_mul_f32_e32 v10, v13, v10
	v_add_f32_e32 v13, v5, v24
	v_add_f32_e32 v22, v37, v15
	v_fmac_f32_e32 v18, v69, v34
	s_delay_alu instid0(VALU_DEP_4) | instskip(NEXT) | instid1(VALU_DEP_4)
	v_fma_f32 v10, v12, v11, -v10
	v_fma_f32 v20, -0.5, v13, v0
	v_sub_f32_e32 v13, v3, v17
	v_add_f32_e32 v19, v0, v37
	v_fma_f32 v0, -0.5, v22, v0
	s_delay_alu instid0(VALU_DEP_3) | instskip(SKIP_1) | instid1(VALU_DEP_3)
	v_fmamk_f32 v12, v13, 0xbf737871, v20
	v_dual_fmac_f32 v20, 0x3f737871, v13 :: v_dual_sub_f32 v21, v15, v24
	v_fmamk_f32 v22, v14, 0x3f737871, v0
	v_fmac_f32_e32 v0, 0xbf737871, v14
	s_delay_alu instid0(VALU_DEP_4) | instskip(NEXT) | instid1(VALU_DEP_4)
	v_fmac_f32_e32 v12, 0xbf167918, v14
	v_dual_fmac_f32 v20, 0x3f167918, v14 :: v_dual_add_f32 v11, v19, v5
	v_sub_f32_e32 v19, v37, v5
	s_delay_alu instid0(VALU_DEP_4) | instskip(SKIP_1) | instid1(VALU_DEP_3)
	v_dual_sub_f32 v25, v24, v15 :: v_dual_fmac_f32 v0, 0x3f167918, v13
	v_fmac_f32_e32 v22, 0xbf167918, v13
	v_dual_add_f32 v14, v26, v6 :: v_dual_add_f32 v19, v19, v21
	v_fma_f32 v21, v69, v35, -v23
	v_sub_f32_e32 v23, v5, v37
	v_sub_f32_e32 v26, v17, v8
	s_delay_alu instid0(VALU_DEP_4) | instskip(SKIP_1) | instid1(VALU_DEP_4)
	v_dual_sub_f32 v5, v5, v24 :: v_dual_fmac_f32 v12, 0x3e9e377a, v19
	v_dual_add_f32 v11, v11, v24 :: v_dual_fmac_f32 v20, 0x3e9e377a, v19
	v_add_f32_e32 v23, v23, v25
	v_add_f32_e32 v27, v6, v8
	;; [unrolled: 1-line block ×3, first 2 shown]
	s_delay_alu instid0(VALU_DEP_4)
	v_add_f32_e32 v11, v11, v15
	v_dual_sub_f32 v15, v37, v15 :: v_dual_sub_f32 v24, v3, v6
	v_fmac_f32_e32 v22, 0x3e9e377a, v23
	v_fma_f32 v25, -0.5, v27, v1
	v_dual_add_f32 v13, v14, v8 :: v_dual_fmac_f32 v0, 0x3e9e377a, v23
	v_fma_f32 v23, -0.5, v19, v1
	s_delay_alu instid0(VALU_DEP_3) | instskip(SKIP_1) | instid1(VALU_DEP_4)
	v_dual_add_f32 v1, v24, v26 :: v_dual_fmamk_f32 v14, v15, 0x3f737871, v25
	v_dual_sub_f32 v3, v6, v3 :: v_dual_sub_f32 v6, v8, v17
	v_dual_add_f32 v27, v13, v17 :: v_dual_add_f32 v8, v36, v38
	s_delay_alu instid0(VALU_DEP_3) | instskip(SKIP_1) | instid1(VALU_DEP_2)
	v_fmac_f32_e32 v14, 0x3f167918, v5
	v_dual_fmac_f32 v25, 0xbf737871, v15 :: v_dual_sub_f32 v26, v9, v18
	v_dual_sub_f32 v19, v7, v38 :: v_dual_fmac_f32 v14, 0x3e9e377a, v1
	v_dual_fmamk_f32 v24, v5, 0xbf737871, v23 :: v_dual_add_f32 v3, v3, v6
	v_add_f32_e32 v6, v7, v9
	s_delay_alu instid0(VALU_DEP_4) | instskip(NEXT) | instid1(VALU_DEP_2)
	v_fmac_f32_e32 v25, 0xbf167918, v5
	v_fma_f32 v6, -0.5, v6, v36
	v_fmac_f32_e32 v23, 0x3f737871, v5
	v_add_f32_e32 v5, v8, v7
	v_fmac_f32_e32 v24, 0x3f167918, v15
	v_fmac_f32_e32 v25, 0x3e9e377a, v1
	s_delay_alu instid0(VALU_DEP_4) | instskip(NEXT) | instid1(VALU_DEP_3)
	v_dual_sub_f32 v8, v4, v21 :: v_dual_fmac_f32 v23, 0xbf167918, v15
	v_dual_add_f32 v1, v5, v9 :: v_dual_fmac_f32 v24, 0x3e9e377a, v3
	s_delay_alu instid0(VALU_DEP_2) | instskip(NEXT) | instid1(VALU_DEP_2)
	v_fmamk_f32 v15, v8, 0xbf737871, v6
	v_dual_fmac_f32 v6, 0x3f737871, v8 :: v_dual_add_f32 v13, v1, v18
	v_sub_f32_e32 v1, v16, v10
	v_add_f32_e32 v5, v38, v18
	s_delay_alu instid0(VALU_DEP_1) | instskip(SKIP_1) | instid1(VALU_DEP_2)
	v_dual_fmac_f32 v23, 0x3e9e377a, v3 :: v_dual_fmac_f32 v36, -0.5, v5
	v_sub_f32_e32 v5, v18, v9
	v_fmamk_f32 v17, v1, 0x3f737871, v36
	v_fmac_f32_e32 v36, 0xbf737871, v1
	s_delay_alu instid0(VALU_DEP_2) | instskip(NEXT) | instid1(VALU_DEP_2)
	v_fmac_f32_e32 v17, 0xbf167918, v8
	v_dual_fmac_f32 v36, 0x3f167918, v8 :: v_dual_sub_f32 v3, v38, v7
	v_fmac_f32_e32 v6, 0x3f167918, v1
	v_sub_f32_e32 v7, v7, v9
	s_delay_alu instid0(VALU_DEP_3) | instskip(SKIP_2) | instid1(VALU_DEP_3)
	v_add_f32_e32 v3, v3, v5
	v_dual_add_f32 v5, v19, v26 :: v_dual_sub_f32 v26, v10, v21
	v_fmac_f32_e32 v15, 0xbf167918, v1
	v_dual_add_f32 v1, v16, v10 :: v_dual_fmac_f32 v6, 0x3e9e377a, v3
	s_delay_alu instid0(VALU_DEP_2) | instskip(SKIP_1) | instid1(VALU_DEP_3)
	v_fmac_f32_e32 v15, 0x3e9e377a, v3
	v_add_f32_e32 v3, v4, v21
	v_fma_f32 v8, -0.5, v1, v2
	v_sub_f32_e32 v1, v38, v18
	v_add_f32_e32 v18, v2, v4
	s_delay_alu instid0(VALU_DEP_4) | instskip(NEXT) | instid1(VALU_DEP_3)
	v_dual_fmac_f32 v2, -0.5, v3 :: v_dual_sub_f32 v3, v4, v16
	v_dual_sub_f32 v4, v16, v4 :: v_dual_fmamk_f32 v9, v1, 0x3f737871, v8
	v_fmac_f32_e32 v8, 0xbf737871, v1
	s_delay_alu instid0(VALU_DEP_3) | instskip(SKIP_1) | instid1(VALU_DEP_4)
	v_fmamk_f32 v19, v7, 0xbf737871, v2
	v_fmac_f32_e32 v2, 0x3f737871, v7
	v_add_f32_e32 v4, v4, v26
	v_fmac_f32_e32 v36, 0x3e9e377a, v5
	s_delay_alu instid0(VALU_DEP_4) | instskip(NEXT) | instid1(VALU_DEP_4)
	v_fmac_f32_e32 v19, 0x3f167918, v1
	v_dual_fmac_f32 v2, 0xbf167918, v1 :: v_dual_add_f32 v1, v18, v16
	s_delay_alu instid0(VALU_DEP_1) | instskip(NEXT) | instid1(VALU_DEP_1)
	v_fmac_f32_e32 v2, 0x3e9e377a, v4
	v_mul_f32_e32 v31, 0xbe9e377a, v2
	v_mul_f32_e32 v26, 0xbf737871, v2
	v_fmac_f32_e32 v8, 0xbf167918, v7
	v_fmac_f32_e32 v17, 0x3e9e377a, v5
	s_delay_alu instid0(VALU_DEP_4) | instskip(SKIP_2) | instid1(VALU_DEP_2)
	v_fmac_f32_e32 v31, 0x3f737871, v36
	v_fmac_f32_e32 v19, 0x3e9e377a, v4
	;; [unrolled: 1-line block ×3, first 2 shown]
	v_dual_mul_f32 v18, 0xbf737871, v19 :: v_dual_sub_f32 v5, v21, v10
	s_delay_alu instid0(VALU_DEP_1) | instskip(NEXT) | instid1(VALU_DEP_1)
	v_add_f32_e32 v3, v3, v5
	v_fmac_f32_e32 v8, 0x3e9e377a, v3
	s_delay_alu instid0(VALU_DEP_3) | instskip(NEXT) | instid1(VALU_DEP_1)
	v_fmac_f32_e32 v18, 0x3e9e377a, v17
	v_dual_mul_f32 v28, 0xbf167918, v8 :: v_dual_add_f32 v5, v22, v18
	v_mul_f32_e32 v32, 0xbf4f1bbd, v8
	v_add_f32_e32 v8, v23, v31
	v_mul_f32_e32 v30, 0x3e9e377a, v19
	s_delay_alu instid0(VALU_DEP_4) | instskip(SKIP_2) | instid1(VALU_DEP_4)
	v_fmac_f32_e32 v28, 0xbf4f1bbd, v6
	v_add_f32_e32 v1, v1, v10
	v_fmac_f32_e32 v32, 0x3f167918, v6
	v_dual_fmac_f32 v30, 0x3f737871, v17 :: v_dual_sub_f32 v17, v0, v26
	s_delay_alu instid0(VALU_DEP_3) | instskip(NEXT) | instid1(VALU_DEP_3)
	v_add_f32_e32 v21, v1, v21
	v_dual_add_f32 v10, v25, v32 :: v_dual_add_f32 v1, v11, v13
	v_sub_f32_e32 v11, v11, v13
	s_delay_alu instid0(VALU_DEP_3) | instskip(SKIP_1) | instid1(VALU_DEP_1)
	v_dual_sub_f32 v19, v20, v28 :: v_dual_add_f32 v2, v27, v21
	v_fmac_f32_e32 v9, 0x3f167918, v7
	v_fmac_f32_e32 v9, 0x3e9e377a, v3
	s_delay_alu instid0(VALU_DEP_1) | instskip(SKIP_3) | instid1(VALU_DEP_4)
	v_mul_f32_e32 v16, 0xbf167918, v9
	v_mul_f32_e32 v29, 0x3f4f1bbd, v9
	v_add_f32_e32 v9, v20, v28
	v_sub_f32_e32 v20, v25, v32
	v_fmac_f32_e32 v16, 0x3f4f1bbd, v15
	s_delay_alu instid0(VALU_DEP_4) | instskip(SKIP_2) | instid1(VALU_DEP_3)
	v_fmac_f32_e32 v29, 0x3f167918, v15
	v_dual_add_f32 v7, v0, v26 :: v_dual_add_nc_u32 v0, 0x800, v95
	v_sub_f32_e32 v15, v22, v18
	v_dual_add_f32 v3, v12, v16 :: v_dual_add_f32 v4, v14, v29
	v_sub_f32_e32 v13, v12, v16
	v_add_f32_e32 v6, v24, v30
	v_sub_f32_e32 v16, v24, v30
	v_dual_sub_f32 v12, v27, v21 :: v_dual_add_nc_u32 v21, 0x400, v95
	v_sub_f32_e32 v14, v14, v29
	v_sub_f32_e32 v18, v23, v31
	v_add_nc_u32_e32 v22, 0xc00, v95
	ds_store_b64 v95, v[1:2]
	ds_store_2addr_b64 v95, v[3:4], v[5:6] offset0:68 offset1:136
	ds_store_2addr_b64 v21, v[7:8], v[9:10] offset0:76 offset1:144
	;; [unrolled: 1-line block ×4, first 2 shown]
	ds_store_b64 v95, v[19:20] offset:4896
	global_wb scope:SCOPE_SE
	s_wait_dscnt 0x0
	s_barrier_signal -1
	s_barrier_wait -1
	global_inv scope:SCOPE_SE
	s_and_b32 exec_lo, exec_lo, vcc_lo
	s_cbranch_execz .LBB0_23
; %bb.22:
	global_load_b64 v[1:2], v90, s[12:13]
	ds_load_b64 v[3:4], v95
	v_mad_co_u64_u32 v[7:8], null, s4, v92, 0
	s_mov_b32 s0, 0x18181818
	s_mov_b32 s1, 0x3f581818
	s_mul_u64 s[2:3], s[4:5], 0x140
	s_wait_loadcnt_dscnt 0x0
	v_mul_f32_e32 v5, v4, v2
	v_mul_f32_e32 v2, v3, v2
	s_delay_alu instid0(VALU_DEP_2) | instskip(NEXT) | instid1(VALU_DEP_2)
	v_fmac_f32_e32 v5, v3, v1
	v_fma_f32 v3, v1, v4, -v2
	s_delay_alu instid0(VALU_DEP_2) | instskip(NEXT) | instid1(VALU_DEP_2)
	v_cvt_f64_f32_e32 v[1:2], v5
	v_cvt_f64_f32_e32 v[3:4], v3
	v_mad_co_u64_u32 v[5:6], null, s6, v56, 0
	s_wait_alu 0xfffe
	s_delay_alu instid0(VALU_DEP_3) | instskip(NEXT) | instid1(VALU_DEP_3)
	v_mul_f64_e32 v[1:2], s[0:1], v[1:2]
	v_mul_f64_e32 v[3:4], s[0:1], v[3:4]
	s_delay_alu instid0(VALU_DEP_2) | instskip(NEXT) | instid1(VALU_DEP_2)
	v_cvt_f32_f64_e32 v1, v[1:2]
	v_cvt_f32_f64_e32 v2, v[3:4]
	v_dual_mov_b32 v4, v8 :: v_dual_mov_b32 v3, v6
	s_delay_alu instid0(VALU_DEP_1) | instskip(SKIP_1) | instid1(VALU_DEP_2)
	v_mad_co_u64_u32 v[8:9], null, s7, v56, v[3:4]
	v_mad_co_u64_u32 v[3:4], null, s5, v92, v[4:5]
	v_mov_b32_e32 v6, v8
	s_delay_alu instid0(VALU_DEP_2) | instskip(NEXT) | instid1(VALU_DEP_2)
	v_mov_b32_e32 v8, v3
	v_lshlrev_b64_e32 v[3:4], 3, v[5:6]
	s_delay_alu instid0(VALU_DEP_2) | instskip(NEXT) | instid1(VALU_DEP_2)
	v_lshlrev_b64_e32 v[5:6], 3, v[7:8]
	v_add_co_u32 v9, vcc_lo, s14, v3
	s_delay_alu instid0(VALU_DEP_3) | instskip(NEXT) | instid1(VALU_DEP_2)
	v_add_co_ci_u32_e32 v10, vcc_lo, s15, v4, vcc_lo
	v_add_co_u32 v5, vcc_lo, v9, v5
	s_wait_alu 0xfffd
	s_delay_alu instid0(VALU_DEP_2)
	v_add_co_ci_u32_e32 v6, vcc_lo, v10, v6, vcc_lo
	global_store_b64 v[5:6], v[1:2], off
	global_load_b64 v[7:8], v90, s[12:13] offset:320
	ds_load_2addr_b64 v[1:4], v95 offset0:40 offset1:80
	v_add_co_u32 v5, vcc_lo, v5, s2
	s_wait_alu 0xfffd
	v_add_co_ci_u32_e32 v6, vcc_lo, s3, v6, vcc_lo
	s_wait_loadcnt_dscnt 0x0
	v_mul_f32_e32 v11, v2, v8
	v_mul_f32_e32 v8, v1, v8
	s_delay_alu instid0(VALU_DEP_2) | instskip(NEXT) | instid1(VALU_DEP_2)
	v_fmac_f32_e32 v11, v1, v7
	v_fma_f32 v7, v7, v2, -v8
	s_delay_alu instid0(VALU_DEP_2) | instskip(NEXT) | instid1(VALU_DEP_2)
	v_cvt_f64_f32_e32 v[1:2], v11
	v_cvt_f64_f32_e32 v[7:8], v7
	s_delay_alu instid0(VALU_DEP_2) | instskip(NEXT) | instid1(VALU_DEP_2)
	v_mul_f64_e32 v[1:2], s[0:1], v[1:2]
	v_mul_f64_e32 v[7:8], s[0:1], v[7:8]
	s_delay_alu instid0(VALU_DEP_2) | instskip(NEXT) | instid1(VALU_DEP_2)
	v_cvt_f32_f64_e32 v1, v[1:2]
	v_cvt_f32_f64_e32 v2, v[7:8]
	global_store_b64 v[5:6], v[1:2], off
	global_load_b64 v[1:2], v90, s[12:13] offset:640
	v_add_co_u32 v5, vcc_lo, v5, s2
	s_wait_alu 0xfffd
	v_add_co_ci_u32_e32 v6, vcc_lo, s3, v6, vcc_lo
	s_wait_loadcnt 0x0
	v_mul_f32_e32 v7, v4, v2
	v_mul_f32_e32 v2, v3, v2
	s_delay_alu instid0(VALU_DEP_2) | instskip(NEXT) | instid1(VALU_DEP_2)
	v_fmac_f32_e32 v7, v3, v1
	v_fma_f32 v3, v1, v4, -v2
	s_delay_alu instid0(VALU_DEP_2) | instskip(NEXT) | instid1(VALU_DEP_2)
	v_cvt_f64_f32_e32 v[1:2], v7
	v_cvt_f64_f32_e32 v[3:4], v3
	s_delay_alu instid0(VALU_DEP_2) | instskip(NEXT) | instid1(VALU_DEP_2)
	v_mul_f64_e32 v[1:2], s[0:1], v[1:2]
	v_mul_f64_e32 v[3:4], s[0:1], v[3:4]
	s_delay_alu instid0(VALU_DEP_2) | instskip(NEXT) | instid1(VALU_DEP_2)
	v_cvt_f32_f64_e32 v1, v[1:2]
	v_cvt_f32_f64_e32 v2, v[3:4]
	global_store_b64 v[5:6], v[1:2], off
	global_load_b64 v[7:8], v90, s[12:13] offset:960
	ds_load_2addr_b64 v[1:4], v95 offset0:120 offset1:160
	v_add_co_u32 v5, vcc_lo, v5, s2
	s_wait_alu 0xfffd
	v_add_co_ci_u32_e32 v6, vcc_lo, s3, v6, vcc_lo
	s_wait_loadcnt_dscnt 0x0
	v_mul_f32_e32 v11, v2, v8
	v_mul_f32_e32 v8, v1, v8
	s_delay_alu instid0(VALU_DEP_2) | instskip(NEXT) | instid1(VALU_DEP_2)
	v_fmac_f32_e32 v11, v1, v7
	v_fma_f32 v7, v7, v2, -v8
	s_delay_alu instid0(VALU_DEP_2) | instskip(NEXT) | instid1(VALU_DEP_2)
	v_cvt_f64_f32_e32 v[1:2], v11
	v_cvt_f64_f32_e32 v[7:8], v7
	s_delay_alu instid0(VALU_DEP_2) | instskip(NEXT) | instid1(VALU_DEP_2)
	v_mul_f64_e32 v[1:2], s[0:1], v[1:2]
	v_mul_f64_e32 v[7:8], s[0:1], v[7:8]
	s_delay_alu instid0(VALU_DEP_2) | instskip(NEXT) | instid1(VALU_DEP_2)
	v_cvt_f32_f64_e32 v1, v[1:2]
	v_cvt_f32_f64_e32 v2, v[7:8]
	global_store_b64 v[5:6], v[1:2], off
	global_load_b64 v[1:2], v90, s[12:13] offset:1280
	v_add_co_u32 v5, vcc_lo, v5, s2
	s_wait_alu 0xfffd
	v_add_co_ci_u32_e32 v6, vcc_lo, s3, v6, vcc_lo
	s_wait_loadcnt 0x0
	v_mul_f32_e32 v7, v4, v2
	v_mul_f32_e32 v2, v3, v2
	s_delay_alu instid0(VALU_DEP_2) | instskip(NEXT) | instid1(VALU_DEP_2)
	v_fmac_f32_e32 v7, v3, v1
	v_fma_f32 v3, v1, v4, -v2
	s_delay_alu instid0(VALU_DEP_2) | instskip(NEXT) | instid1(VALU_DEP_2)
	v_cvt_f64_f32_e32 v[1:2], v7
	v_cvt_f64_f32_e32 v[3:4], v3
	s_delay_alu instid0(VALU_DEP_2) | instskip(NEXT) | instid1(VALU_DEP_2)
	v_mul_f64_e32 v[1:2], s[0:1], v[1:2]
	v_mul_f64_e32 v[3:4], s[0:1], v[3:4]
	s_delay_alu instid0(VALU_DEP_2) | instskip(NEXT) | instid1(VALU_DEP_2)
	v_cvt_f32_f64_e32 v1, v[1:2]
	v_cvt_f32_f64_e32 v2, v[3:4]
	;; [unrolled: 41-line block ×3, first 2 shown]
	global_store_b64 v[5:6], v[1:2], off
	global_load_b64 v[7:8], v90, s[12:13] offset:2240
	ds_load_2addr_b64 v[1:4], v0 offset0:24 offset1:64
	v_add_co_u32 v5, vcc_lo, v5, s2
	s_wait_alu 0xfffd
	v_add_co_ci_u32_e32 v6, vcc_lo, s3, v6, vcc_lo
	s_wait_loadcnt_dscnt 0x0
	v_mul_f32_e32 v11, v2, v8
	v_mul_f32_e32 v8, v1, v8
	s_delay_alu instid0(VALU_DEP_2) | instskip(NEXT) | instid1(VALU_DEP_2)
	v_fmac_f32_e32 v11, v1, v7
	v_fma_f32 v7, v7, v2, -v8
	s_delay_alu instid0(VALU_DEP_2) | instskip(NEXT) | instid1(VALU_DEP_2)
	v_cvt_f64_f32_e32 v[1:2], v11
	v_cvt_f64_f32_e32 v[7:8], v7
	s_delay_alu instid0(VALU_DEP_2) | instskip(NEXT) | instid1(VALU_DEP_2)
	v_mul_f64_e32 v[1:2], s[0:1], v[1:2]
	v_mul_f64_e32 v[7:8], s[0:1], v[7:8]
	s_delay_alu instid0(VALU_DEP_2) | instskip(NEXT) | instid1(VALU_DEP_2)
	v_cvt_f32_f64_e32 v1, v[1:2]
	v_cvt_f32_f64_e32 v2, v[7:8]
	global_store_b64 v[5:6], v[1:2], off
	global_load_b64 v[1:2], v90, s[12:13] offset:2560
	v_mad_co_u64_u32 v[5:6], null, 0x280, s4, v[5:6]
	s_wait_loadcnt 0x0
	v_mul_f32_e32 v7, v4, v2
	v_mul_f32_e32 v2, v3, v2
	s_delay_alu instid0(VALU_DEP_2) | instskip(NEXT) | instid1(VALU_DEP_2)
	v_fmac_f32_e32 v7, v3, v1
	v_fma_f32 v3, v1, v4, -v2
	s_delay_alu instid0(VALU_DEP_2) | instskip(NEXT) | instid1(VALU_DEP_2)
	v_cvt_f64_f32_e32 v[1:2], v7
	v_cvt_f64_f32_e32 v[3:4], v3
	v_mad_co_u64_u32 v[7:8], null, s4, v91, 0
	s_delay_alu instid0(VALU_DEP_3) | instskip(NEXT) | instid1(VALU_DEP_3)
	v_mul_f64_e32 v[1:2], s[0:1], v[1:2]
	v_mul_f64_e32 v[3:4], s[0:1], v[3:4]
	s_delay_alu instid0(VALU_DEP_2) | instskip(NEXT) | instid1(VALU_DEP_2)
	v_cvt_f32_f64_e32 v1, v[1:2]
	v_cvt_f32_f64_e32 v2, v[3:4]
	v_mov_b32_e32 v3, v8
	s_delay_alu instid0(VALU_DEP_1) | instskip(NEXT) | instid1(VALU_DEP_1)
	v_mad_co_u64_u32 v[3:4], null, s5, v91, v[3:4]
	v_mov_b32_e32 v8, v3
	s_delay_alu instid0(VALU_DEP_1) | instskip(NEXT) | instid1(VALU_DEP_1)
	v_lshlrev_b64_e32 v[3:4], 3, v[7:8]
	v_add_co_u32 v3, vcc_lo, v9, v3
	s_wait_alu 0xfffd
	s_delay_alu instid0(VALU_DEP_2)
	v_add_co_ci_u32_e32 v4, vcc_lo, v10, v4, vcc_lo
	global_store_b64 v[3:4], v[1:2], off
	global_load_b64 v[7:8], v90, s[12:13] offset:2880
	ds_load_2addr_b64 v[1:4], v0 offset0:104 offset1:144
	s_wait_loadcnt_dscnt 0x0
	v_mul_f32_e32 v11, v2, v8
	v_mul_f32_e32 v8, v1, v8
	s_delay_alu instid0(VALU_DEP_2) | instskip(NEXT) | instid1(VALU_DEP_2)
	v_fmac_f32_e32 v11, v1, v7
	v_fma_f32 v7, v7, v2, -v8
	s_delay_alu instid0(VALU_DEP_2) | instskip(NEXT) | instid1(VALU_DEP_2)
	v_cvt_f64_f32_e32 v[1:2], v11
	v_cvt_f64_f32_e32 v[7:8], v7
	s_delay_alu instid0(VALU_DEP_2) | instskip(NEXT) | instid1(VALU_DEP_2)
	v_mul_f64_e32 v[1:2], s[0:1], v[1:2]
	v_mul_f64_e32 v[7:8], s[0:1], v[7:8]
	s_delay_alu instid0(VALU_DEP_2) | instskip(NEXT) | instid1(VALU_DEP_2)
	v_cvt_f32_f64_e32 v1, v[1:2]
	v_cvt_f32_f64_e32 v2, v[7:8]
	v_mad_co_u64_u32 v[6:7], null, 0x280, s5, v[6:7]
	global_store_b64 v[5:6], v[1:2], off
	global_load_b64 v[1:2], v90, s[12:13] offset:3200
	s_wait_loadcnt 0x0
	v_mul_f32_e32 v7, v4, v2
	v_mul_f32_e32 v2, v3, v2
	s_delay_alu instid0(VALU_DEP_2) | instskip(NEXT) | instid1(VALU_DEP_2)
	v_fmac_f32_e32 v7, v3, v1
	v_fma_f32 v3, v1, v4, -v2
	s_delay_alu instid0(VALU_DEP_2) | instskip(NEXT) | instid1(VALU_DEP_2)
	v_cvt_f64_f32_e32 v[1:2], v7
	v_cvt_f64_f32_e32 v[3:4], v3
	s_delay_alu instid0(VALU_DEP_2) | instskip(NEXT) | instid1(VALU_DEP_2)
	v_mul_f64_e32 v[1:2], s[0:1], v[1:2]
	v_mul_f64_e32 v[3:4], s[0:1], v[3:4]
	s_delay_alu instid0(VALU_DEP_2) | instskip(NEXT) | instid1(VALU_DEP_2)
	v_cvt_f32_f64_e32 v1, v[1:2]
	v_cvt_f32_f64_e32 v2, v[3:4]
	v_add_co_u32 v4, vcc_lo, v5, s2
	s_wait_alu 0xfffd
	v_add_co_ci_u32_e32 v5, vcc_lo, s3, v6, vcc_lo
	global_store_b64 v[4:5], v[1:2], off
	global_load_b64 v[6:7], v90, s[12:13] offset:3520
	ds_load_2addr_b64 v[0:3], v0 offset0:184 offset1:224
	v_add_co_u32 v4, vcc_lo, v4, s2
	s_wait_alu 0xfffd
	v_add_co_ci_u32_e32 v5, vcc_lo, s3, v5, vcc_lo
	s_wait_loadcnt_dscnt 0x0
	v_mul_f32_e32 v8, v1, v7
	v_mul_f32_e32 v7, v0, v7
	s_delay_alu instid0(VALU_DEP_2) | instskip(NEXT) | instid1(VALU_DEP_2)
	v_fmac_f32_e32 v8, v0, v6
	v_fma_f32 v6, v6, v1, -v7
	s_delay_alu instid0(VALU_DEP_2) | instskip(NEXT) | instid1(VALU_DEP_2)
	v_cvt_f64_f32_e32 v[0:1], v8
	v_cvt_f64_f32_e32 v[6:7], v6
	v_add_nc_u32_e32 v8, 0x1000, v95
	s_delay_alu instid0(VALU_DEP_3) | instskip(NEXT) | instid1(VALU_DEP_3)
	v_mul_f64_e32 v[0:1], s[0:1], v[0:1]
	v_mul_f64_e32 v[6:7], s[0:1], v[6:7]
	s_delay_alu instid0(VALU_DEP_2) | instskip(NEXT) | instid1(VALU_DEP_2)
	v_cvt_f32_f64_e32 v0, v[0:1]
	v_cvt_f32_f64_e32 v1, v[6:7]
	global_store_b64 v[4:5], v[0:1], off
	global_load_b64 v[0:1], v90, s[12:13] offset:3840
	v_add_co_u32 v4, vcc_lo, v4, s2
	s_wait_alu 0xfffd
	v_add_co_ci_u32_e32 v5, vcc_lo, s3, v5, vcc_lo
	s_wait_loadcnt 0x0
	v_mul_f32_e32 v6, v3, v1
	v_mul_f32_e32 v1, v2, v1
	s_delay_alu instid0(VALU_DEP_2) | instskip(NEXT) | instid1(VALU_DEP_2)
	v_fmac_f32_e32 v6, v2, v0
	v_fma_f32 v2, v0, v3, -v1
	s_delay_alu instid0(VALU_DEP_2) | instskip(NEXT) | instid1(VALU_DEP_2)
	v_cvt_f64_f32_e32 v[0:1], v6
	v_cvt_f64_f32_e32 v[2:3], v2
	s_delay_alu instid0(VALU_DEP_2) | instskip(NEXT) | instid1(VALU_DEP_2)
	v_mul_f64_e32 v[0:1], s[0:1], v[0:1]
	v_mul_f64_e32 v[2:3], s[0:1], v[2:3]
	s_delay_alu instid0(VALU_DEP_2) | instskip(NEXT) | instid1(VALU_DEP_2)
	v_cvt_f32_f64_e32 v0, v[0:1]
	v_cvt_f32_f64_e32 v1, v[2:3]
	global_store_b64 v[4:5], v[0:1], off
	global_load_b64 v[6:7], v90, s[12:13] offset:4160
	ds_load_2addr_b64 v[0:3], v8 offset0:8 offset1:48
	v_add_co_u32 v4, vcc_lo, v4, s2
	s_wait_alu 0xfffd
	v_add_co_ci_u32_e32 v5, vcc_lo, s3, v5, vcc_lo
	s_wait_loadcnt_dscnt 0x0
	v_mul_f32_e32 v11, v1, v7
	v_mul_f32_e32 v7, v0, v7
	s_delay_alu instid0(VALU_DEP_2) | instskip(NEXT) | instid1(VALU_DEP_2)
	v_fmac_f32_e32 v11, v0, v6
	v_fma_f32 v6, v6, v1, -v7
	s_delay_alu instid0(VALU_DEP_2) | instskip(NEXT) | instid1(VALU_DEP_2)
	v_cvt_f64_f32_e32 v[0:1], v11
	v_cvt_f64_f32_e32 v[6:7], v6
	s_delay_alu instid0(VALU_DEP_2) | instskip(NEXT) | instid1(VALU_DEP_2)
	v_mul_f64_e32 v[0:1], s[0:1], v[0:1]
	v_mul_f64_e32 v[6:7], s[0:1], v[6:7]
	s_delay_alu instid0(VALU_DEP_2) | instskip(NEXT) | instid1(VALU_DEP_2)
	v_cvt_f32_f64_e32 v0, v[0:1]
	v_cvt_f32_f64_e32 v1, v[6:7]
	global_store_b64 v[4:5], v[0:1], off
	global_load_b64 v[0:1], v90, s[12:13] offset:4480
	v_add_co_u32 v4, vcc_lo, v4, s2
	s_wait_alu 0xfffd
	v_add_co_ci_u32_e32 v5, vcc_lo, s3, v5, vcc_lo
	s_wait_loadcnt 0x0
	v_mul_f32_e32 v6, v3, v1
	v_mul_f32_e32 v1, v2, v1
	s_delay_alu instid0(VALU_DEP_2) | instskip(NEXT) | instid1(VALU_DEP_2)
	v_fmac_f32_e32 v6, v2, v0
	v_fma_f32 v2, v0, v3, -v1
	s_delay_alu instid0(VALU_DEP_2) | instskip(NEXT) | instid1(VALU_DEP_2)
	v_cvt_f64_f32_e32 v[0:1], v6
	v_cvt_f64_f32_e32 v[2:3], v2
	s_delay_alu instid0(VALU_DEP_2) | instskip(NEXT) | instid1(VALU_DEP_2)
	v_mul_f64_e32 v[0:1], s[0:1], v[0:1]
	v_mul_f64_e32 v[2:3], s[0:1], v[2:3]
	s_delay_alu instid0(VALU_DEP_2) | instskip(NEXT) | instid1(VALU_DEP_2)
	v_cvt_f32_f64_e32 v0, v[0:1]
	v_cvt_f32_f64_e32 v1, v[2:3]
	global_store_b64 v[4:5], v[0:1], off
	global_load_b64 v[6:7], v90, s[12:13] offset:4800
	ds_load_2addr_b64 v[0:3], v8 offset0:88 offset1:128
	v_add_co_u32 v4, vcc_lo, v4, s2
	s_wait_alu 0xfffd
	v_add_co_ci_u32_e32 v5, vcc_lo, s3, v5, vcc_lo
	s_wait_loadcnt_dscnt 0x0
	v_mul_f32_e32 v8, v1, v7
	v_mul_f32_e32 v7, v0, v7
	s_delay_alu instid0(VALU_DEP_2) | instskip(NEXT) | instid1(VALU_DEP_2)
	v_fmac_f32_e32 v8, v0, v6
	v_fma_f32 v6, v6, v1, -v7
	s_delay_alu instid0(VALU_DEP_2) | instskip(NEXT) | instid1(VALU_DEP_2)
	v_cvt_f64_f32_e32 v[0:1], v8
	v_cvt_f64_f32_e32 v[6:7], v6
	s_delay_alu instid0(VALU_DEP_2) | instskip(NEXT) | instid1(VALU_DEP_2)
	v_mul_f64_e32 v[0:1], s[0:1], v[0:1]
	v_mul_f64_e32 v[6:7], s[0:1], v[6:7]
	s_delay_alu instid0(VALU_DEP_2) | instskip(NEXT) | instid1(VALU_DEP_2)
	v_cvt_f32_f64_e32 v0, v[0:1]
	v_cvt_f32_f64_e32 v1, v[6:7]
	global_store_b64 v[4:5], v[0:1], off
	global_load_b64 v[0:1], v90, s[12:13] offset:5120
	s_wait_loadcnt 0x0
	v_mul_f32_e32 v4, v3, v1
	v_mul_f32_e32 v1, v2, v1
	s_delay_alu instid0(VALU_DEP_2) | instskip(NEXT) | instid1(VALU_DEP_2)
	v_fmac_f32_e32 v4, v2, v0
	v_fma_f32 v2, v0, v3, -v1
	s_delay_alu instid0(VALU_DEP_2) | instskip(NEXT) | instid1(VALU_DEP_2)
	v_cvt_f64_f32_e32 v[0:1], v4
	v_cvt_f64_f32_e32 v[2:3], v2
	v_mad_co_u64_u32 v[4:5], null, s4, v89, 0
	s_delay_alu instid0(VALU_DEP_3) | instskip(NEXT) | instid1(VALU_DEP_3)
	v_mul_f64_e32 v[0:1], s[0:1], v[0:1]
	v_mul_f64_e32 v[2:3], s[0:1], v[2:3]
	s_delay_alu instid0(VALU_DEP_2) | instskip(NEXT) | instid1(VALU_DEP_2)
	v_cvt_f32_f64_e32 v0, v[0:1]
	v_cvt_f32_f64_e32 v1, v[2:3]
	v_mov_b32_e32 v2, v5
	s_delay_alu instid0(VALU_DEP_1) | instskip(NEXT) | instid1(VALU_DEP_1)
	v_mad_co_u64_u32 v[2:3], null, s5, v89, v[2:3]
	v_mov_b32_e32 v5, v2
	s_delay_alu instid0(VALU_DEP_1) | instskip(NEXT) | instid1(VALU_DEP_1)
	v_lshlrev_b64_e32 v[2:3], 3, v[4:5]
	v_add_co_u32 v2, vcc_lo, v9, v2
	s_wait_alu 0xfffd
	s_delay_alu instid0(VALU_DEP_2)
	v_add_co_ci_u32_e32 v3, vcc_lo, v10, v3, vcc_lo
	global_store_b64 v[2:3], v[0:1], off
.LBB0_23:
	s_nop 0
	s_sendmsg sendmsg(MSG_DEALLOC_VGPRS)
	s_endpgm
	.section	.rodata,"a",@progbits
	.p2align	6, 0x0
	.amdhsa_kernel bluestein_single_back_len680_dim1_sp_op_CI_CI
		.amdhsa_group_segment_fixed_size 16320
		.amdhsa_private_segment_fixed_size 0
		.amdhsa_kernarg_size 104
		.amdhsa_user_sgpr_count 2
		.amdhsa_user_sgpr_dispatch_ptr 0
		.amdhsa_user_sgpr_queue_ptr 0
		.amdhsa_user_sgpr_kernarg_segment_ptr 1
		.amdhsa_user_sgpr_dispatch_id 0
		.amdhsa_user_sgpr_private_segment_size 0
		.amdhsa_wavefront_size32 1
		.amdhsa_uses_dynamic_stack 0
		.amdhsa_enable_private_segment 0
		.amdhsa_system_sgpr_workgroup_id_x 1
		.amdhsa_system_sgpr_workgroup_id_y 0
		.amdhsa_system_sgpr_workgroup_id_z 0
		.amdhsa_system_sgpr_workgroup_info 0
		.amdhsa_system_vgpr_workitem_id 0
		.amdhsa_next_free_vgpr 211
		.amdhsa_next_free_sgpr 16
		.amdhsa_reserve_vcc 1
		.amdhsa_float_round_mode_32 0
		.amdhsa_float_round_mode_16_64 0
		.amdhsa_float_denorm_mode_32 3
		.amdhsa_float_denorm_mode_16_64 3
		.amdhsa_fp16_overflow 0
		.amdhsa_workgroup_processor_mode 1
		.amdhsa_memory_ordered 1
		.amdhsa_forward_progress 0
		.amdhsa_round_robin_scheduling 0
		.amdhsa_exception_fp_ieee_invalid_op 0
		.amdhsa_exception_fp_denorm_src 0
		.amdhsa_exception_fp_ieee_div_zero 0
		.amdhsa_exception_fp_ieee_overflow 0
		.amdhsa_exception_fp_ieee_underflow 0
		.amdhsa_exception_fp_ieee_inexact 0
		.amdhsa_exception_int_div_zero 0
	.end_amdhsa_kernel
	.text
.Lfunc_end0:
	.size	bluestein_single_back_len680_dim1_sp_op_CI_CI, .Lfunc_end0-bluestein_single_back_len680_dim1_sp_op_CI_CI
                                        ; -- End function
	.section	.AMDGPU.csdata,"",@progbits
; Kernel info:
; codeLenInByte = 20384
; NumSgprs: 18
; NumVgprs: 211
; ScratchSize: 0
; MemoryBound: 0
; FloatMode: 240
; IeeeMode: 1
; LDSByteSize: 16320 bytes/workgroup (compile time only)
; SGPRBlocks: 2
; VGPRBlocks: 26
; NumSGPRsForWavesPerEU: 18
; NumVGPRsForWavesPerEU: 211
; Occupancy: 7
; WaveLimiterHint : 1
; COMPUTE_PGM_RSRC2:SCRATCH_EN: 0
; COMPUTE_PGM_RSRC2:USER_SGPR: 2
; COMPUTE_PGM_RSRC2:TRAP_HANDLER: 0
; COMPUTE_PGM_RSRC2:TGID_X_EN: 1
; COMPUTE_PGM_RSRC2:TGID_Y_EN: 0
; COMPUTE_PGM_RSRC2:TGID_Z_EN: 0
; COMPUTE_PGM_RSRC2:TIDIG_COMP_CNT: 0
	.text
	.p2alignl 7, 3214868480
	.fill 96, 4, 3214868480
	.type	__hip_cuid_ce4f9799ba880a08,@object ; @__hip_cuid_ce4f9799ba880a08
	.section	.bss,"aw",@nobits
	.globl	__hip_cuid_ce4f9799ba880a08
__hip_cuid_ce4f9799ba880a08:
	.byte	0                               ; 0x0
	.size	__hip_cuid_ce4f9799ba880a08, 1

	.ident	"AMD clang version 19.0.0git (https://github.com/RadeonOpenCompute/llvm-project roc-6.4.0 25133 c7fe45cf4b819c5991fe208aaa96edf142730f1d)"
	.section	".note.GNU-stack","",@progbits
	.addrsig
	.addrsig_sym __hip_cuid_ce4f9799ba880a08
	.amdgpu_metadata
---
amdhsa.kernels:
  - .args:
      - .actual_access:  read_only
        .address_space:  global
        .offset:         0
        .size:           8
        .value_kind:     global_buffer
      - .actual_access:  read_only
        .address_space:  global
        .offset:         8
        .size:           8
        .value_kind:     global_buffer
      - .actual_access:  read_only
        .address_space:  global
        .offset:         16
        .size:           8
        .value_kind:     global_buffer
      - .actual_access:  read_only
        .address_space:  global
        .offset:         24
        .size:           8
        .value_kind:     global_buffer
      - .actual_access:  read_only
        .address_space:  global
        .offset:         32
        .size:           8
        .value_kind:     global_buffer
      - .offset:         40
        .size:           8
        .value_kind:     by_value
      - .address_space:  global
        .offset:         48
        .size:           8
        .value_kind:     global_buffer
      - .address_space:  global
        .offset:         56
        .size:           8
        .value_kind:     global_buffer
      - .address_space:  global
        .offset:         64
        .size:           8
        .value_kind:     global_buffer
      - .address_space:  global
        .offset:         72
        .size:           8
        .value_kind:     global_buffer
      - .offset:         80
        .size:           4
        .value_kind:     by_value
      - .address_space:  global
        .offset:         88
        .size:           8
        .value_kind:     global_buffer
      - .address_space:  global
        .offset:         96
        .size:           8
        .value_kind:     global_buffer
    .group_segment_fixed_size: 16320
    .kernarg_segment_align: 8
    .kernarg_segment_size: 104
    .language:       OpenCL C
    .language_version:
      - 2
      - 0
    .max_flat_workgroup_size: 204
    .name:           bluestein_single_back_len680_dim1_sp_op_CI_CI
    .private_segment_fixed_size: 0
    .sgpr_count:     18
    .sgpr_spill_count: 0
    .symbol:         bluestein_single_back_len680_dim1_sp_op_CI_CI.kd
    .uniform_work_group_size: 1
    .uses_dynamic_stack: false
    .vgpr_count:     211
    .vgpr_spill_count: 0
    .wavefront_size: 32
    .workgroup_processor_mode: 1
amdhsa.target:   amdgcn-amd-amdhsa--gfx1201
amdhsa.version:
  - 1
  - 2
...

	.end_amdgpu_metadata
